;; amdgpu-corpus repo=ROCm/composable_kernel kind=compiled arch=gfx950 opt=O3
	.amdgcn_target "amdgcn-amd-amdhsa--gfx950"
	.amdhsa_code_object_version 6
	.section	.text._ZN2ckL12flush_icacheEv,"axG",@progbits,_ZN2ckL12flush_icacheEv,comdat
	.globl	_ZN2ckL12flush_icacheEv         ; -- Begin function _ZN2ckL12flush_icacheEv
	.p2align	8
	.type	_ZN2ckL12flush_icacheEv,@function
_ZN2ckL12flush_icacheEv:                ; @_ZN2ckL12flush_icacheEv
; %bb.0:
	;;#ASMSTART
	s_icache_inv 
	s_nop 0 
	s_nop 0 
	;; [unrolled: 1-line block ×16, first 2 shown]
	
	;;#ASMEND
	s_endpgm
	.section	.rodata,"a",@progbits
	.p2align	6, 0x0
	.amdhsa_kernel _ZN2ckL12flush_icacheEv
		.amdhsa_group_segment_fixed_size 0
		.amdhsa_private_segment_fixed_size 0
		.amdhsa_kernarg_size 0
		.amdhsa_user_sgpr_count 0
		.amdhsa_user_sgpr_dispatch_ptr 0
		.amdhsa_user_sgpr_queue_ptr 0
		.amdhsa_user_sgpr_kernarg_segment_ptr 0
		.amdhsa_user_sgpr_dispatch_id 0
		.amdhsa_user_sgpr_kernarg_preload_length 0
		.amdhsa_user_sgpr_kernarg_preload_offset 0
		.amdhsa_user_sgpr_private_segment_size 0
		.amdhsa_uses_dynamic_stack 0
		.amdhsa_enable_private_segment 0
		.amdhsa_system_sgpr_workgroup_id_x 1
		.amdhsa_system_sgpr_workgroup_id_y 0
		.amdhsa_system_sgpr_workgroup_id_z 0
		.amdhsa_system_sgpr_workgroup_info 0
		.amdhsa_system_vgpr_workitem_id 0
		.amdhsa_next_free_vgpr 1
		.amdhsa_next_free_sgpr 0
		.amdhsa_accum_offset 4
		.amdhsa_reserve_vcc 0
		.amdhsa_float_round_mode_32 0
		.amdhsa_float_round_mode_16_64 0
		.amdhsa_float_denorm_mode_32 3
		.amdhsa_float_denorm_mode_16_64 3
		.amdhsa_dx10_clamp 1
		.amdhsa_ieee_mode 1
		.amdhsa_fp16_overflow 0
		.amdhsa_tg_split 0
		.amdhsa_exception_fp_ieee_invalid_op 0
		.amdhsa_exception_fp_denorm_src 0
		.amdhsa_exception_fp_ieee_div_zero 0
		.amdhsa_exception_fp_ieee_overflow 0
		.amdhsa_exception_fp_ieee_underflow 0
		.amdhsa_exception_fp_ieee_inexact 0
		.amdhsa_exception_int_div_zero 0
	.end_amdhsa_kernel
	.section	.text._ZN2ckL12flush_icacheEv,"axG",@progbits,_ZN2ckL12flush_icacheEv,comdat
.Lfunc_end0:
	.size	_ZN2ckL12flush_icacheEv, .Lfunc_end0-_ZN2ckL12flush_icacheEv
                                        ; -- End function
	.set _ZN2ckL12flush_icacheEv.num_vgpr, 0
	.set _ZN2ckL12flush_icacheEv.num_agpr, 0
	.set _ZN2ckL12flush_icacheEv.numbered_sgpr, 0
	.set _ZN2ckL12flush_icacheEv.num_named_barrier, 0
	.set _ZN2ckL12flush_icacheEv.private_seg_size, 0
	.set _ZN2ckL12flush_icacheEv.uses_vcc, 0
	.set _ZN2ckL12flush_icacheEv.uses_flat_scratch, 0
	.set _ZN2ckL12flush_icacheEv.has_dyn_sized_stack, 0
	.set _ZN2ckL12flush_icacheEv.has_recursion, 0
	.set _ZN2ckL12flush_icacheEv.has_indirect_call, 0
	.section	.AMDGPU.csdata,"",@progbits
; Kernel info:
; codeLenInByte = 276
; TotalNumSgprs: 6
; NumVgprs: 0
; NumAgprs: 0
; TotalNumVgprs: 0
; ScratchSize: 0
; MemoryBound: 0
; FloatMode: 240
; IeeeMode: 1
; LDSByteSize: 0 bytes/workgroup (compile time only)
; SGPRBlocks: 0
; VGPRBlocks: 0
; NumSGPRsForWavesPerEU: 6
; NumVGPRsForWavesPerEU: 1
; AccumOffset: 4
; Occupancy: 8
; WaveLimiterHint : 0
; COMPUTE_PGM_RSRC2:SCRATCH_EN: 0
; COMPUTE_PGM_RSRC2:USER_SGPR: 0
; COMPUTE_PGM_RSRC2:TRAP_HANDLER: 0
; COMPUTE_PGM_RSRC2:TGID_X_EN: 1
; COMPUTE_PGM_RSRC2:TGID_Y_EN: 0
; COMPUTE_PGM_RSRC2:TGID_Z_EN: 0
; COMPUTE_PGM_RSRC2:TIDIG_COMP_CNT: 0
; COMPUTE_PGM_RSRC3_GFX90A:ACCUM_OFFSET: 0
; COMPUTE_PGM_RSRC3_GFX90A:TG_SPLIT: 0
	.text
	.p2align	2                               ; -- Begin function _ZNK2ck52BlockwiseGemmXdlops_pipeline_bpreshuffle_bdequant_v3ILNS_26BlockGemmPipelineSchedulerE0ELi256ENS_9f8_fnuz_tENS_7pk_i4_tES2_fNS_16TensorDescriptorINS_5TupleIJNS_5EmbedINS5_IJNS_17integral_constantIiLi8EEENS7_IiLi256EEENS7_IiLi16EEEEEENS5_IJSA_NS7_IiLi128EEENS7_IiLi1EEEEEELb0EEENS_3XorINS5_IJS9_S8_EEELb1EEENS_11PassThroughISA_EENS_7UnMergeINS5_IJS8_SD_EEELb0EEENSJ_IS9_EESK_NSJ_IS8_EENS_21Merge_v3_division_modINS5_IJS9_SD_EEEEESK_EEENS5_IJNS_8SequenceIJLi0EEEENSU_IJLi2ELi1EEEENSU_IJLi3EEEENSU_IJLi5EEEENSU_IJLi4EEEENSU_IJLi6EEEENSU_IJLi7EEEENSU_IJLi9ELi8EEEENSU_IJLi10EEEEEEENS5_IJNSU_IJLi1ELi2ELi3EEEENSU_IJLi4ELi5EEEES10_NSU_IJLi7ELi8EEEENSU_IJLi9EEEES13_NSU_IJLi11EEEENSU_IJLi12EEEENSU_IJLi13EEEEEEENSU_IJLi11ELi12ELi13EEEENS7_IlLl32768EEEEENS4_INS5_IJNSL_INS5_IJS8_SD_SD_NS7_IiLi32EEEEEELb0EEEEEENS5_IJSV_EEENS5_IJNSU_IJLi1ELi2ELi3ELi4EEEEEEES1L_NS7_IlLl256EEEEENS4_INS5_IJSF_SI_SK_SN_SO_SK_SP_SS_SK_NSQ_INS5_IJS8_SA_EEEEENSL_INS5_IJS8_NS7_IiLi2EEESA_EEELb0EEEEEENS5_IJSV_SW_SX_SY_SZ_S10_S11_S12_S13_NSU_IJLi11ELi13EEEES1A_EEENS5_IJS15_S16_S10_S17_S18_S13_S19_S1A_S1B_NSU_IJLi14EEEENSU_IJLi15ELi16ELi17EEEEEEENSU_IJLi15ELi16ELi17ELi14EEEES1E_EENS4_INS5_IJS1I_NSQ_ISM_EES1T_EEENS5_IJSV_NSU_IJLi1ELi3EEEENSU_IJLi2EEEEEEENS5_IJS1L_SY_NSU_IJLi6ELi7ELi8EEEEEEENSU_IJLi6ELi7ELi8ELi5EEEES1N_EELi16ELi32ELi256ELi256ELi128ELi16ELi16ELi8ELi8ELi32ELb0EE3RunILb1ELNS_10TailNumberE0ENS4_INS5_IJNS6_INS5_IJiiEEENS5_IJiSD_EEELb0EEENSL_IS2E_Lb0EEENSJ_IiEEEEENS5_IJSV_S25_NSU_IJLi1EEEEEEENS5_IJNSU_IJLi1ELi2EEEENSU_IJLi3ELi4EEEESY_EEENSU_IJLi3ELi5ELi4EEEElEES1F_NS_35ThreadGroupTensorSliceTransfer_v4r1INS_15ThisThreadBlockILi256EEENS_16tensor_operation12element_wise11PassThroughES2W_LNS_25InMemoryDataOperationEnumE0ENSU_IJLi8ELi256ELi16EEEENSU_IJLi8ELi32ELi1EEEENSU_IJLi1ELi0ELi2EEEES2_S2_RKS2Q_KS1F_S30_NSU_IJLi0ELi1ELi2EEEELi2ELi2ELi16ELi16ELi1ELi1ELb0ELb1ELi2EiEENS_13DynamicBufferILNS_16AddressSpaceEnumE1EKS2_lLb1ELNS_22AmdBufferCoherenceEnumE0EiEENS5_IJNS36_ILS37_2ES2_S1E_Lb1ELS39_0EiEES3B_EEENS5_IJiiiEEENS4_INS5_IJNS6_INS5_IJiiiiEEENS5_IJiiiSD_EEELb0EEEEEES1K_S1M_S1L_lEENS_32ThreadwiseTensorSliceTransfer_v2IS3_S3_RKS3I_KS1O_NSU_IJLi8ELi1ELi1ELi32EEEENSU_IJLi1ELi2ELi0ELi3EEEELi3ELi32ELi0ELb1ELb0ELb0EEENS36_ILS37_1EKS3_lLb1ELS39_0EiEENS5_IJNS_12StaticBufferILS37_4ES3_Li256ELb1EEES3T_EEES3E_NS_25StaticBufferTupleOfVectorILS37_4EfLi64ELi4ELb1ELb0EEEEEvRKT1_RKT2_RT3_RKT4_RT5_RKT6_RKT7_RT8_RKT9_RT10_RKT11_RT12_i
	.type	_ZNK2ck52BlockwiseGemmXdlops_pipeline_bpreshuffle_bdequant_v3ILNS_26BlockGemmPipelineSchedulerE0ELi256ENS_9f8_fnuz_tENS_7pk_i4_tES2_fNS_16TensorDescriptorINS_5TupleIJNS_5EmbedINS5_IJNS_17integral_constantIiLi8EEENS7_IiLi256EEENS7_IiLi16EEEEEENS5_IJSA_NS7_IiLi128EEENS7_IiLi1EEEEEELb0EEENS_3XorINS5_IJS9_S8_EEELb1EEENS_11PassThroughISA_EENS_7UnMergeINS5_IJS8_SD_EEELb0EEENSJ_IS9_EESK_NSJ_IS8_EENS_21Merge_v3_division_modINS5_IJS9_SD_EEEEESK_EEENS5_IJNS_8SequenceIJLi0EEEENSU_IJLi2ELi1EEEENSU_IJLi3EEEENSU_IJLi5EEEENSU_IJLi4EEEENSU_IJLi6EEEENSU_IJLi7EEEENSU_IJLi9ELi8EEEENSU_IJLi10EEEEEEENS5_IJNSU_IJLi1ELi2ELi3EEEENSU_IJLi4ELi5EEEES10_NSU_IJLi7ELi8EEEENSU_IJLi9EEEES13_NSU_IJLi11EEEENSU_IJLi12EEEENSU_IJLi13EEEEEEENSU_IJLi11ELi12ELi13EEEENS7_IlLl32768EEEEENS4_INS5_IJNSL_INS5_IJS8_SD_SD_NS7_IiLi32EEEEEELb0EEEEEENS5_IJSV_EEENS5_IJNSU_IJLi1ELi2ELi3ELi4EEEEEEES1L_NS7_IlLl256EEEEENS4_INS5_IJSF_SI_SK_SN_SO_SK_SP_SS_SK_NSQ_INS5_IJS8_SA_EEEEENSL_INS5_IJS8_NS7_IiLi2EEESA_EEELb0EEEEEENS5_IJSV_SW_SX_SY_SZ_S10_S11_S12_S13_NSU_IJLi11ELi13EEEES1A_EEENS5_IJS15_S16_S10_S17_S18_S13_S19_S1A_S1B_NSU_IJLi14EEEENSU_IJLi15ELi16ELi17EEEEEEENSU_IJLi15ELi16ELi17ELi14EEEES1E_EENS4_INS5_IJS1I_NSQ_ISM_EES1T_EEENS5_IJSV_NSU_IJLi1ELi3EEEENSU_IJLi2EEEEEEENS5_IJS1L_SY_NSU_IJLi6ELi7ELi8EEEEEEENSU_IJLi6ELi7ELi8ELi5EEEES1N_EELi16ELi32ELi256ELi256ELi128ELi16ELi16ELi8ELi8ELi32ELb0EE3RunILb1ELNS_10TailNumberE0ENS4_INS5_IJNS6_INS5_IJiiEEENS5_IJiSD_EEELb0EEENSL_IS2E_Lb0EEENSJ_IiEEEEENS5_IJSV_S25_NSU_IJLi1EEEEEEENS5_IJNSU_IJLi1ELi2EEEENSU_IJLi3ELi4EEEESY_EEENSU_IJLi3ELi5ELi4EEEElEES1F_NS_35ThreadGroupTensorSliceTransfer_v4r1INS_15ThisThreadBlockILi256EEENS_16tensor_operation12element_wise11PassThroughES2W_LNS_25InMemoryDataOperationEnumE0ENSU_IJLi8ELi256ELi16EEEENSU_IJLi8ELi32ELi1EEEENSU_IJLi1ELi0ELi2EEEES2_S2_RKS2Q_KS1F_S30_NSU_IJLi0ELi1ELi2EEEELi2ELi2ELi16ELi16ELi1ELi1ELb0ELb1ELi2EiEENS_13DynamicBufferILNS_16AddressSpaceEnumE1EKS2_lLb1ELNS_22AmdBufferCoherenceEnumE0EiEENS5_IJNS36_ILS37_2ES2_S1E_Lb1ELS39_0EiEES3B_EEENS5_IJiiiEEENS4_INS5_IJNS6_INS5_IJiiiiEEENS5_IJiiiSD_EEELb0EEEEEES1K_S1M_S1L_lEENS_32ThreadwiseTensorSliceTransfer_v2IS3_S3_RKS3I_KS1O_NSU_IJLi8ELi1ELi1ELi32EEEENSU_IJLi1ELi2ELi0ELi3EEEELi3ELi32ELi0ELb1ELb0ELb0EEENS36_ILS37_1EKS3_lLb1ELS39_0EiEENS5_IJNS_12StaticBufferILS37_4ES3_Li256ELb1EEES3T_EEES3E_NS_25StaticBufferTupleOfVectorILS37_4EfLi64ELi4ELb1ELb0EEEEEvRKT1_RKT2_RT3_RKT4_RT5_RKT6_RKT7_RT8_RKT9_RT10_RKT11_RT12_i,@function
_ZNK2ck52BlockwiseGemmXdlops_pipeline_bpreshuffle_bdequant_v3ILNS_26BlockGemmPipelineSchedulerE0ELi256ENS_9f8_fnuz_tENS_7pk_i4_tES2_fNS_16TensorDescriptorINS_5TupleIJNS_5EmbedINS5_IJNS_17integral_constantIiLi8EEENS7_IiLi256EEENS7_IiLi16EEEEEENS5_IJSA_NS7_IiLi128EEENS7_IiLi1EEEEEELb0EEENS_3XorINS5_IJS9_S8_EEELb1EEENS_11PassThroughISA_EENS_7UnMergeINS5_IJS8_SD_EEELb0EEENSJ_IS9_EESK_NSJ_IS8_EENS_21Merge_v3_division_modINS5_IJS9_SD_EEEEESK_EEENS5_IJNS_8SequenceIJLi0EEEENSU_IJLi2ELi1EEEENSU_IJLi3EEEENSU_IJLi5EEEENSU_IJLi4EEEENSU_IJLi6EEEENSU_IJLi7EEEENSU_IJLi9ELi8EEEENSU_IJLi10EEEEEEENS5_IJNSU_IJLi1ELi2ELi3EEEENSU_IJLi4ELi5EEEES10_NSU_IJLi7ELi8EEEENSU_IJLi9EEEES13_NSU_IJLi11EEEENSU_IJLi12EEEENSU_IJLi13EEEEEEENSU_IJLi11ELi12ELi13EEEENS7_IlLl32768EEEEENS4_INS5_IJNSL_INS5_IJS8_SD_SD_NS7_IiLi32EEEEEELb0EEEEEENS5_IJSV_EEENS5_IJNSU_IJLi1ELi2ELi3ELi4EEEEEEES1L_NS7_IlLl256EEEEENS4_INS5_IJSF_SI_SK_SN_SO_SK_SP_SS_SK_NSQ_INS5_IJS8_SA_EEEEENSL_INS5_IJS8_NS7_IiLi2EEESA_EEELb0EEEEEENS5_IJSV_SW_SX_SY_SZ_S10_S11_S12_S13_NSU_IJLi11ELi13EEEES1A_EEENS5_IJS15_S16_S10_S17_S18_S13_S19_S1A_S1B_NSU_IJLi14EEEENSU_IJLi15ELi16ELi17EEEEEEENSU_IJLi15ELi16ELi17ELi14EEEES1E_EENS4_INS5_IJS1I_NSQ_ISM_EES1T_EEENS5_IJSV_NSU_IJLi1ELi3EEEENSU_IJLi2EEEEEEENS5_IJS1L_SY_NSU_IJLi6ELi7ELi8EEEEEEENSU_IJLi6ELi7ELi8ELi5EEEES1N_EELi16ELi32ELi256ELi256ELi128ELi16ELi16ELi8ELi8ELi32ELb0EE3RunILb1ELNS_10TailNumberE0ENS4_INS5_IJNS6_INS5_IJiiEEENS5_IJiSD_EEELb0EEENSL_IS2E_Lb0EEENSJ_IiEEEEENS5_IJSV_S25_NSU_IJLi1EEEEEEENS5_IJNSU_IJLi1ELi2EEEENSU_IJLi3ELi4EEEESY_EEENSU_IJLi3ELi5ELi4EEEElEES1F_NS_35ThreadGroupTensorSliceTransfer_v4r1INS_15ThisThreadBlockILi256EEENS_16tensor_operation12element_wise11PassThroughES2W_LNS_25InMemoryDataOperationEnumE0ENSU_IJLi8ELi256ELi16EEEENSU_IJLi8ELi32ELi1EEEENSU_IJLi1ELi0ELi2EEEES2_S2_RKS2Q_KS1F_S30_NSU_IJLi0ELi1ELi2EEEELi2ELi2ELi16ELi16ELi1ELi1ELb0ELb1ELi2EiEENS_13DynamicBufferILNS_16AddressSpaceEnumE1EKS2_lLb1ELNS_22AmdBufferCoherenceEnumE0EiEENS5_IJNS36_ILS37_2ES2_S1E_Lb1ELS39_0EiEES3B_EEENS5_IJiiiEEENS4_INS5_IJNS6_INS5_IJiiiiEEENS5_IJiiiSD_EEELb0EEEEEES1K_S1M_S1L_lEENS_32ThreadwiseTensorSliceTransfer_v2IS3_S3_RKS3I_KS1O_NSU_IJLi8ELi1ELi1ELi32EEEENSU_IJLi1ELi2ELi0ELi3EEEELi3ELi32ELi0ELb1ELb0ELb0EEENS36_ILS37_1EKS3_lLb1ELS39_0EiEENS5_IJNS_12StaticBufferILS37_4ES3_Li256ELb1EEES3T_EEES3E_NS_25StaticBufferTupleOfVectorILS37_4EfLi64ELi4ELb1ELb0EEEEEvRKT1_RKT2_RT3_RKT4_RT5_RKT6_RKT7_RT8_RKT9_RT10_RKT11_RT12_i: ; @_ZNK2ck52BlockwiseGemmXdlops_pipeline_bpreshuffle_bdequant_v3ILNS_26BlockGemmPipelineSchedulerE0ELi256ENS_9f8_fnuz_tENS_7pk_i4_tES2_fNS_16TensorDescriptorINS_5TupleIJNS_5EmbedINS5_IJNS_17integral_constantIiLi8EEENS7_IiLi256EEENS7_IiLi16EEEEEENS5_IJSA_NS7_IiLi128EEENS7_IiLi1EEEEEELb0EEENS_3XorINS5_IJS9_S8_EEELb1EEENS_11PassThroughISA_EENS_7UnMergeINS5_IJS8_SD_EEELb0EEENSJ_IS9_EESK_NSJ_IS8_EENS_21Merge_v3_division_modINS5_IJS9_SD_EEEEESK_EEENS5_IJNS_8SequenceIJLi0EEEENSU_IJLi2ELi1EEEENSU_IJLi3EEEENSU_IJLi5EEEENSU_IJLi4EEEENSU_IJLi6EEEENSU_IJLi7EEEENSU_IJLi9ELi8EEEENSU_IJLi10EEEEEEENS5_IJNSU_IJLi1ELi2ELi3EEEENSU_IJLi4ELi5EEEES10_NSU_IJLi7ELi8EEEENSU_IJLi9EEEES13_NSU_IJLi11EEEENSU_IJLi12EEEENSU_IJLi13EEEEEEENSU_IJLi11ELi12ELi13EEEENS7_IlLl32768EEEEENS4_INS5_IJNSL_INS5_IJS8_SD_SD_NS7_IiLi32EEEEEELb0EEEEEENS5_IJSV_EEENS5_IJNSU_IJLi1ELi2ELi3ELi4EEEEEEES1L_NS7_IlLl256EEEEENS4_INS5_IJSF_SI_SK_SN_SO_SK_SP_SS_SK_NSQ_INS5_IJS8_SA_EEEEENSL_INS5_IJS8_NS7_IiLi2EEESA_EEELb0EEEEEENS5_IJSV_SW_SX_SY_SZ_S10_S11_S12_S13_NSU_IJLi11ELi13EEEES1A_EEENS5_IJS15_S16_S10_S17_S18_S13_S19_S1A_S1B_NSU_IJLi14EEEENSU_IJLi15ELi16ELi17EEEEEEENSU_IJLi15ELi16ELi17ELi14EEEES1E_EENS4_INS5_IJS1I_NSQ_ISM_EES1T_EEENS5_IJSV_NSU_IJLi1ELi3EEEENSU_IJLi2EEEEEEENS5_IJS1L_SY_NSU_IJLi6ELi7ELi8EEEEEEENSU_IJLi6ELi7ELi8ELi5EEEES1N_EELi16ELi32ELi256ELi256ELi128ELi16ELi16ELi8ELi8ELi32ELb0EE3RunILb1ELNS_10TailNumberE0ENS4_INS5_IJNS6_INS5_IJiiEEENS5_IJiSD_EEELb0EEENSL_IS2E_Lb0EEENSJ_IiEEEEENS5_IJSV_S25_NSU_IJLi1EEEEEEENS5_IJNSU_IJLi1ELi2EEEENSU_IJLi3ELi4EEEESY_EEENSU_IJLi3ELi5ELi4EEEElEES1F_NS_35ThreadGroupTensorSliceTransfer_v4r1INS_15ThisThreadBlockILi256EEENS_16tensor_operation12element_wise11PassThroughES2W_LNS_25InMemoryDataOperationEnumE0ENSU_IJLi8ELi256ELi16EEEENSU_IJLi8ELi32ELi1EEEENSU_IJLi1ELi0ELi2EEEES2_S2_RKS2Q_KS1F_S30_NSU_IJLi0ELi1ELi2EEEELi2ELi2ELi16ELi16ELi1ELi1ELb0ELb1ELi2EiEENS_13DynamicBufferILNS_16AddressSpaceEnumE1EKS2_lLb1ELNS_22AmdBufferCoherenceEnumE0EiEENS5_IJNS36_ILS37_2ES2_S1E_Lb1ELS39_0EiEES3B_EEENS5_IJiiiEEENS4_INS5_IJNS6_INS5_IJiiiiEEENS5_IJiiiSD_EEELb0EEEEEES1K_S1M_S1L_lEENS_32ThreadwiseTensorSliceTransfer_v2IS3_S3_RKS3I_KS1O_NSU_IJLi8ELi1ELi1ELi32EEEENSU_IJLi1ELi2ELi0ELi3EEEELi3ELi32ELi0ELb1ELb0ELb0EEENS36_ILS37_1EKS3_lLb1ELS39_0EiEENS5_IJNS_12StaticBufferILS37_4ES3_Li256ELb1EEES3T_EEES3E_NS_25StaticBufferTupleOfVectorILS37_4EfLi64ELi4ELb1ELb0EEEEEvRKT1_RKT2_RT3_RKT4_RT5_RKT6_RKT7_RT8_RKT9_RT10_RKT11_RT12_i
; %bb.0:
	s_waitcnt vmcnt(0) expcnt(0) lgkmcnt(0)
	v_accvgpr_write_b32 a41, v19
	v_accvgpr_write_b32 a45, v11
	;; [unrolled: 1-line block ×4, first 2 shown]
	; sched_barrier mask(0x00000000)
	flat_load_dwordx3 v[28:30], v[14:15]
	flat_load_dwordx4 v[24:27], v[16:17]
	v_accvgpr_write_b32 a43, v17
	v_accvgpr_write_b32 a42, v16
	v_mov_b32_e32 v11, 0
	s_mov_b64 s[2:3], exec
	s_waitcnt vmcnt(0) lgkmcnt(0)
	v_lshrrev_b32_e32 v16, 31, v28
	v_lshrrev_b32_e32 v10, 31, v27
	v_add_u32_e32 v18, v28, v16
	v_lshl_add_u64 v[16:17], v[26:27], 0, v[10:11]
	v_and_b32_e32 v25, 0xffff, v25
	v_mov_b32_e32 v27, 0x20000
	v_ashrrev_i32_e32 v10, 1, v18
	v_alignbit_b32 v26, v17, v16, 1
.LBB1_1:                                ; =>This Inner Loop Header: Depth=1
	v_readfirstlane_b32 s4, v24
	v_readfirstlane_b32 s5, v25
	;; [unrolled: 1-line block ×4, first 2 shown]
	v_cmp_eq_u64_e32 vcc, s[4:5], v[24:25]
	s_nop 0
	v_cmp_eq_u64_e64 s[0:1], s[6:7], v[26:27]
	s_and_b64 s[0:1], vcc, s[0:1]
	s_and_saveexec_b64 s[0:1], s[0:1]
	buffer_load_dwordx4 v[196:199], v10, s[4:7], 0 offen
                                        ; implicit-def: $vgpr10
	s_xor_b64 exec, exec, s[0:1]
	s_cbranch_execnz .LBB1_1
; %bb.2:
	s_mov_b64 exec, s[2:3]
	v_add_u32_e32 v10, 1, v29
	flat_store_dword v[14:15], v10 offset:4
	flat_load_dword v10, v[12:13] offset:16
	s_mov_b64 s[2:3], exec
	s_waitcnt vmcnt(0) lgkmcnt(0)
	v_add_u32_e32 v10, v10, v28
	v_lshrrev_b32_e32 v11, 31, v10
	v_add_u32_e32 v11, v10, v11
	v_ashrrev_i32_e32 v11, 1, v11
	flat_store_dword v[14:15], v10
.LBB1_3:                                ; =>This Inner Loop Header: Depth=1
	v_readfirstlane_b32 s4, v24
	v_readfirstlane_b32 s5, v25
	v_readfirstlane_b32 s6, v26
	v_readfirstlane_b32 s7, v27
	v_cmp_eq_u64_e32 vcc, s[4:5], v[24:25]
	s_nop 0
	v_cmp_eq_u64_e64 s[0:1], s[6:7], v[26:27]
	s_and_b64 s[0:1], vcc, s[0:1]
	s_and_saveexec_b64 s[0:1], s[0:1]
	buffer_load_dwordx4 v[192:195], v11, s[4:7], 0 offen
                                        ; implicit-def: $vgpr11
	s_xor_b64 exec, exec, s[0:1]
	s_cbranch_execnz .LBB1_3
; %bb.4:
	s_mov_b64 exec, s[2:3]
	v_add_u32_e32 v11, 2, v29
	flat_store_dword v[14:15], v11 offset:4
	flat_load_dword v11, v[12:13] offset:16
	s_mov_b64 s[2:3], exec
	s_waitcnt vmcnt(0) lgkmcnt(0)
	v_add_u32_e32 v10, v11, v10
	v_lshrrev_b32_e32 v11, 31, v10
	v_add_u32_e32 v11, v10, v11
	v_ashrrev_i32_e32 v11, 1, v11
	flat_store_dword v[14:15], v10
.LBB1_5:                                ; =>This Inner Loop Header: Depth=1
	v_readfirstlane_b32 s4, v24
	v_readfirstlane_b32 s5, v25
	v_readfirstlane_b32 s6, v26
	v_readfirstlane_b32 s7, v27
	v_cmp_eq_u64_e32 vcc, s[4:5], v[24:25]
	s_nop 0
	v_cmp_eq_u64_e64 s[0:1], s[6:7], v[26:27]
	s_and_b64 s[0:1], vcc, s[0:1]
	s_and_saveexec_b64 s[0:1], s[0:1]
	buffer_load_dwordx4 v[180:183], v11, s[4:7], 0 offen
                                        ; implicit-def: $vgpr11
	s_xor_b64 exec, exec, s[0:1]
	s_cbranch_execnz .LBB1_5
; %bb.6:
	s_mov_b64 exec, s[2:3]
	v_add_u32_e32 v11, 3, v29
	flat_store_dword v[14:15], v11 offset:4
	flat_load_dword v11, v[12:13] offset:16
	s_mov_b64 s[2:3], exec
	s_waitcnt vmcnt(0) lgkmcnt(0)
	v_add_u32_e32 v10, v11, v10
	v_lshrrev_b32_e32 v11, 31, v10
	v_add_u32_e32 v11, v10, v11
	v_ashrrev_i32_e32 v11, 1, v11
	flat_store_dword v[14:15], v10
.LBB1_7:                                ; =>This Inner Loop Header: Depth=1
	v_readfirstlane_b32 s4, v24
	v_readfirstlane_b32 s5, v25
	v_readfirstlane_b32 s6, v26
	v_readfirstlane_b32 s7, v27
	v_cmp_eq_u64_e32 vcc, s[4:5], v[24:25]
	s_nop 0
	v_cmp_eq_u64_e64 s[0:1], s[6:7], v[26:27]
	s_and_b64 s[0:1], vcc, s[0:1]
	s_and_saveexec_b64 s[0:1], s[0:1]
	buffer_load_dwordx4 v[176:179], v11, s[4:7], 0 offen
                                        ; implicit-def: $vgpr11
	s_xor_b64 exec, exec, s[0:1]
	s_cbranch_execnz .LBB1_7
; %bb.8:
	s_mov_b64 exec, s[2:3]
	v_add_u32_e32 v11, 4, v29
	flat_store_dword v[14:15], v11 offset:4
	flat_load_dword v11, v[12:13] offset:16
	s_mov_b64 s[2:3], exec
	s_waitcnt vmcnt(0) lgkmcnt(0)
	v_add_u32_e32 v10, v11, v10
	v_lshrrev_b32_e32 v11, 31, v10
	v_add_u32_e32 v11, v10, v11
	v_ashrrev_i32_e32 v11, 1, v11
	flat_store_dword v[14:15], v10
.LBB1_9:                                ; =>This Inner Loop Header: Depth=1
	v_readfirstlane_b32 s4, v24
	v_readfirstlane_b32 s5, v25
	v_readfirstlane_b32 s6, v26
	v_readfirstlane_b32 s7, v27
	v_cmp_eq_u64_e32 vcc, s[4:5], v[24:25]
	s_nop 0
	v_cmp_eq_u64_e64 s[0:1], s[6:7], v[26:27]
	s_and_b64 s[0:1], vcc, s[0:1]
	s_and_saveexec_b64 s[0:1], s[0:1]
	buffer_load_dwordx4 v[164:167], v11, s[4:7], 0 offen
                                        ; implicit-def: $vgpr11
	s_xor_b64 exec, exec, s[0:1]
	s_cbranch_execnz .LBB1_9
; %bb.10:
	s_mov_b64 exec, s[2:3]
	v_add_u32_e32 v11, 5, v29
	flat_store_dword v[14:15], v11 offset:4
	flat_load_dword v11, v[12:13] offset:16
	s_mov_b64 s[2:3], exec
	s_waitcnt vmcnt(0) lgkmcnt(0)
	v_add_u32_e32 v10, v11, v10
	v_lshrrev_b32_e32 v11, 31, v10
	v_add_u32_e32 v11, v10, v11
	v_ashrrev_i32_e32 v11, 1, v11
	flat_store_dword v[14:15], v10
.LBB1_11:                               ; =>This Inner Loop Header: Depth=1
	v_readfirstlane_b32 s4, v24
	v_readfirstlane_b32 s5, v25
	;; [unrolled: 1-line block ×4, first 2 shown]
	v_cmp_eq_u64_e32 vcc, s[4:5], v[24:25]
	s_nop 0
	v_cmp_eq_u64_e64 s[0:1], s[6:7], v[26:27]
	s_and_b64 s[0:1], vcc, s[0:1]
	s_and_saveexec_b64 s[0:1], s[0:1]
	buffer_load_dwordx4 v[144:147], v11, s[4:7], 0 offen
                                        ; implicit-def: $vgpr11
	s_xor_b64 exec, exec, s[0:1]
	s_cbranch_execnz .LBB1_11
; %bb.12:
	s_mov_b64 exec, s[2:3]
	v_add_u32_e32 v11, 6, v29
	flat_store_dword v[14:15], v11 offset:4
	flat_load_dword v11, v[12:13] offset:16
	s_mov_b64 s[2:3], exec
	s_waitcnt vmcnt(0) lgkmcnt(0)
	v_add_u32_e32 v10, v11, v10
	v_lshrrev_b32_e32 v11, 31, v10
	v_add_u32_e32 v11, v10, v11
	v_ashrrev_i32_e32 v11, 1, v11
	flat_store_dword v[14:15], v10
.LBB1_13:                               ; =>This Inner Loop Header: Depth=1
	v_readfirstlane_b32 s4, v24
	v_readfirstlane_b32 s5, v25
	;; [unrolled: 1-line block ×4, first 2 shown]
	v_cmp_eq_u64_e32 vcc, s[4:5], v[24:25]
	s_nop 0
	v_cmp_eq_u64_e64 s[0:1], s[6:7], v[26:27]
	s_and_b64 s[0:1], vcc, s[0:1]
	s_and_saveexec_b64 s[0:1], s[0:1]
	buffer_load_dwordx4 v[148:151], v11, s[4:7], 0 offen
                                        ; implicit-def: $vgpr11
	s_xor_b64 exec, exec, s[0:1]
	s_cbranch_execnz .LBB1_13
; %bb.14:
	s_mov_b64 exec, s[2:3]
	v_add_u32_e32 v11, 7, v29
	flat_store_dword v[14:15], v11 offset:4
	flat_load_dword v11, v[12:13] offset:16
	s_mov_b64 s[2:3], exec
	s_waitcnt vmcnt(0) lgkmcnt(0)
	v_add_u32_e32 v28, v11, v10
	v_lshrrev_b32_e32 v10, 31, v28
	v_add_u32_e32 v10, v28, v10
	v_ashrrev_i32_e32 v10, 1, v10
	flat_store_dword v[14:15], v28
.LBB1_15:                               ; =>This Inner Loop Header: Depth=1
	v_readfirstlane_b32 s4, v24
	v_readfirstlane_b32 s5, v25
	;; [unrolled: 1-line block ×4, first 2 shown]
	v_cmp_eq_u64_e32 vcc, s[4:5], v[24:25]
	s_nop 0
	v_cmp_eq_u64_e64 s[0:1], s[6:7], v[26:27]
	s_and_b64 s[0:1], vcc, s[0:1]
	s_and_saveexec_b64 s[0:1], s[0:1]
	buffer_load_dwordx4 v[160:163], v10, s[4:7], 0 offen
                                        ; implicit-def: $vgpr24_vgpr25_vgpr26_vgpr27
                                        ; implicit-def: $vgpr10
	s_xor_b64 exec, exec, s[0:1]
	s_cbranch_execnz .LBB1_15
; %bb.16:
	s_mov_b64 exec, s[2:3]
	flat_store_dword v[14:15], v29 offset:4
	flat_load_dword v10, v[12:13] offset:16
	s_waitcnt vmcnt(0) lgkmcnt(0)
	v_mad_u64_u32 v[32:33], s[0:1], v10, -7, v[28:29]
	v_accvgpr_read_b32 v10, a40
	flat_store_dword v[14:15], v32
	v_accvgpr_read_b32 v11, a41
	flat_load_dwordx4 v[24:27], v[10:11]
	s_nop 0
	flat_load_dwordx2 v[10:11], v[14:15] offset:12
	s_waitcnt vmcnt(0) lgkmcnt(0)
	v_mov_b32_e32 v34, v25
	v_mov_b32_e32 v35, v26
	v_or_b32_e32 v17, v25, v26
	v_add_u32_e32 v16, v29, v24
	v_add_u32_e32 v19, v11, v27
	v_or3_b32 v11, v17, v24, v27
	v_pk_mov_b32 v[28:29], v[34:35], v[34:35] op_sel:[1,0]
	v_cmp_ne_u32_e32 vcc, 0, v11
	v_add_u32_e32 v17, v30, v29
	v_add_u32_e32 v18, v10, v28
	flat_store_dwordx4 v[14:15], v[16:19] offset:4
	s_and_saveexec_b64 s[0:1], vcc
	s_cbranch_execz .LBB1_18
; %bb.17:
	flat_load_dwordx3 v[16:18], v[12:13] offset:16
	s_waitcnt vmcnt(0) lgkmcnt(0)
	v_mul_lo_u32 v10, v16, v24
	v_mul_lo_u32 v11, v18, v35
	;; [unrolled: 1-line block ×3, first 2 shown]
	v_add3_u32 v10, v32, v27, v10
	v_add3_u32 v10, v10, v16, v11
	flat_store_dword v[14:15], v10
.LBB1_18:
	s_or_b64 exec, exec, s[0:1]
	v_mov_b32_e32 v10, 1
	flat_store_byte v[4:5], v10 offset:288
	flat_load_dwordx4 v[24:27], v[6:7]
	flat_load_dwordx2 v[36:37], v[4:5] offset:704
	s_waitcnt vmcnt(0) lgkmcnt(0)
	v_mov_b32_e32 v27, 0x20000
	s_mov_b64 s[2:3], exec
	v_and_b32_e32 v25, 0xffff, v25
.LBB1_19:                               ; =>This Inner Loop Header: Depth=1
	v_readfirstlane_b32 s4, v24
	v_readfirstlane_b32 s5, v25
	;; [unrolled: 1-line block ×4, first 2 shown]
	v_cmp_eq_u64_e32 vcc, s[4:5], v[24:25]
	s_nop 0
	v_cmp_eq_u64_e64 s[0:1], s[6:7], v[26:27]
	s_and_b64 s[0:1], vcc, s[0:1]
	s_and_saveexec_b64 s[0:1], s[0:1]
	buffer_load_dwordx4 v[28:31], v36, s[4:7], 0 offen
                                        ; implicit-def: $vgpr24_vgpr25_vgpr26_vgpr27
	s_xor_b64 exec, exec, s[0:1]
	s_cbranch_execnz .LBB1_19
; %bb.20:
	s_mov_b64 exec, s[2:3]
	flat_load_dwordx3 v[32:34], v[4:5] offset:716
	v_add_u32_e32 v11, 1, v37
	flat_store_dword v[4:5], v11 offset:708
	s_waitcnt vmcnt(0)
	flat_store_dwordx4 v[4:5], v[28:31]
	flat_store_byte v[4:5], v10 offset:304
	s_mov_b64 s[2:3], exec
	s_waitcnt lgkmcnt(0)
	v_add_u32_e32 v11, 1, v34
	flat_store_dword v[4:5], v11 offset:724
	flat_load_dword v11, v[2:3] offset:8
	s_waitcnt vmcnt(0) lgkmcnt(0)
	v_add_u32_e32 v11, v11, v36
	flat_store_dword v[4:5], v11 offset:704
	flat_load_dwordx4 v[24:27], v[6:7]
	s_waitcnt vmcnt(0) lgkmcnt(0)
	v_mov_b32_e32 v27, 0x20000
	v_and_b32_e32 v25, 0xffff, v25
.LBB1_21:                               ; =>This Inner Loop Header: Depth=1
	v_readfirstlane_b32 s4, v24
	v_readfirstlane_b32 s5, v25
	v_readfirstlane_b32 s6, v26
	v_readfirstlane_b32 s7, v27
	v_cmp_eq_u64_e32 vcc, s[4:5], v[24:25]
	s_nop 0
	v_cmp_eq_u64_e64 s[0:1], s[6:7], v[26:27]
	s_and_b64 s[0:1], vcc, s[0:1]
	s_and_saveexec_b64 s[0:1], s[0:1]
	buffer_load_dwordx4 v[28:31], v11, s[4:7], 0 offen
                                        ; implicit-def: $vgpr24_vgpr25_vgpr26_vgpr27
	s_xor_b64 exec, exec, s[0:1]
	s_cbranch_execnz .LBB1_21
; %bb.22:
	s_mov_b64 exec, s[2:3]
	v_add_u32_e32 v16, 2, v34
	flat_store_dword v[4:5], v16 offset:724
	v_add_u32_e32 v16, 2, v37
	s_waitcnt vmcnt(0)
	flat_store_dwordx4 v[4:5], v[28:31] offset:16
	flat_store_dword v[4:5], v16 offset:708
	flat_load_dword v16, v[2:3] offset:8
	s_mov_b64 s[2:3], exec
	flat_store_byte v[4:5], v10 offset:320
	s_waitcnt vmcnt(0) lgkmcnt(0)
	v_add_u32_e32 v11, v16, v11
	flat_store_dword v[4:5], v11 offset:704
	flat_load_dwordx4 v[24:27], v[6:7]
	s_waitcnt vmcnt(0) lgkmcnt(0)
	v_mov_b32_e32 v27, 0x20000
	v_and_b32_e32 v25, 0xffff, v25
.LBB1_23:                               ; =>This Inner Loop Header: Depth=1
	v_readfirstlane_b32 s4, v24
	v_readfirstlane_b32 s5, v25
	v_readfirstlane_b32 s6, v26
	v_readfirstlane_b32 s7, v27
	v_cmp_eq_u64_e32 vcc, s[4:5], v[24:25]
	s_nop 0
	v_cmp_eq_u64_e64 s[0:1], s[6:7], v[26:27]
	s_and_b64 s[0:1], vcc, s[0:1]
	s_and_saveexec_b64 s[0:1], s[0:1]
	buffer_load_dwordx4 v[28:31], v11, s[4:7], 0 offen
                                        ; implicit-def: $vgpr24_vgpr25_vgpr26_vgpr27
	s_xor_b64 exec, exec, s[0:1]
	s_cbranch_execnz .LBB1_23
; %bb.24:
	s_mov_b64 exec, s[2:3]
	v_add_u32_e32 v16, 3, v34
	flat_store_dword v[4:5], v16 offset:724
	v_add_u32_e32 v16, 3, v37
	s_waitcnt vmcnt(0)
	flat_store_dwordx4 v[4:5], v[28:31] offset:32
	flat_store_dword v[4:5], v16 offset:708
	flat_load_dword v16, v[2:3] offset:8
	s_mov_b64 s[2:3], exec
	flat_store_byte v[4:5], v10 offset:336
	s_waitcnt vmcnt(0) lgkmcnt(0)
	v_add_u32_e32 v11, v16, v11
	flat_store_dword v[4:5], v11 offset:704
	flat_load_dwordx4 v[24:27], v[6:7]
	s_waitcnt vmcnt(0) lgkmcnt(0)
	v_mov_b32_e32 v27, 0x20000
	v_and_b32_e32 v25, 0xffff, v25
.LBB1_25:                               ; =>This Inner Loop Header: Depth=1
	v_readfirstlane_b32 s4, v24
	v_readfirstlane_b32 s5, v25
	v_readfirstlane_b32 s6, v26
	v_readfirstlane_b32 s7, v27
	v_cmp_eq_u64_e32 vcc, s[4:5], v[24:25]
	s_nop 0
	v_cmp_eq_u64_e64 s[0:1], s[6:7], v[26:27]
	s_and_b64 s[0:1], vcc, s[0:1]
	s_and_saveexec_b64 s[0:1], s[0:1]
	buffer_load_dwordx4 v[28:31], v11, s[4:7], 0 offen
                                        ; implicit-def: $vgpr24_vgpr25_vgpr26_vgpr27
	s_xor_b64 exec, exec, s[0:1]
	s_cbranch_execnz .LBB1_25
; %bb.26:
	s_mov_b64 exec, s[2:3]
	v_add_u32_e32 v16, 4, v34
	flat_store_dword v[4:5], v16 offset:724
	v_add_u32_e32 v16, 4, v37
	s_waitcnt vmcnt(0)
	flat_store_dwordx4 v[4:5], v[28:31] offset:48
	flat_store_dword v[4:5], v16 offset:708
	flat_load_dword v16, v[2:3] offset:8
	s_mov_b64 s[2:3], exec
	flat_store_byte v[4:5], v10 offset:352
	s_waitcnt vmcnt(0) lgkmcnt(0)
	v_add_u32_e32 v11, v16, v11
	flat_store_dword v[4:5], v11 offset:704
	flat_load_dwordx4 v[24:27], v[6:7]
	s_waitcnt vmcnt(0) lgkmcnt(0)
	v_mov_b32_e32 v27, 0x20000
	v_and_b32_e32 v25, 0xffff, v25
.LBB1_27:                               ; =>This Inner Loop Header: Depth=1
	v_readfirstlane_b32 s4, v24
	v_readfirstlane_b32 s5, v25
	v_readfirstlane_b32 s6, v26
	v_readfirstlane_b32 s7, v27
	v_cmp_eq_u64_e32 vcc, s[4:5], v[24:25]
	s_nop 0
	v_cmp_eq_u64_e64 s[0:1], s[6:7], v[26:27]
	s_and_b64 s[0:1], vcc, s[0:1]
	s_and_saveexec_b64 s[0:1], s[0:1]
	buffer_load_dwordx4 v[28:31], v11, s[4:7], 0 offen
                                        ; implicit-def: $vgpr24_vgpr25_vgpr26_vgpr27
	s_xor_b64 exec, exec, s[0:1]
	s_cbranch_execnz .LBB1_27
; %bb.28:
	s_mov_b64 exec, s[2:3]
	v_add_u32_e32 v16, 5, v34
	flat_store_dword v[4:5], v16 offset:724
	v_add_u32_e32 v16, 5, v37
	s_waitcnt vmcnt(0)
	flat_store_dwordx4 v[4:5], v[28:31] offset:64
	flat_store_dword v[4:5], v16 offset:708
	flat_load_dword v16, v[2:3] offset:8
	s_mov_b64 s[2:3], exec
	flat_store_byte v[4:5], v10 offset:368
	s_waitcnt vmcnt(0) lgkmcnt(0)
	v_add_u32_e32 v11, v16, v11
	flat_store_dword v[4:5], v11 offset:704
	flat_load_dwordx4 v[24:27], v[6:7]
	s_waitcnt vmcnt(0) lgkmcnt(0)
	v_mov_b32_e32 v27, 0x20000
	v_and_b32_e32 v25, 0xffff, v25
.LBB1_29:                               ; =>This Inner Loop Header: Depth=1
	v_readfirstlane_b32 s4, v24
	v_readfirstlane_b32 s5, v25
	v_readfirstlane_b32 s6, v26
	v_readfirstlane_b32 s7, v27
	v_cmp_eq_u64_e32 vcc, s[4:5], v[24:25]
	s_nop 0
	v_cmp_eq_u64_e64 s[0:1], s[6:7], v[26:27]
	s_and_b64 s[0:1], vcc, s[0:1]
	s_and_saveexec_b64 s[0:1], s[0:1]
	buffer_load_dwordx4 v[28:31], v11, s[4:7], 0 offen
                                        ; implicit-def: $vgpr24_vgpr25_vgpr26_vgpr27
	s_xor_b64 exec, exec, s[0:1]
	s_cbranch_execnz .LBB1_29
; %bb.30:
	s_mov_b64 exec, s[2:3]
	v_add_u32_e32 v16, 6, v34
	flat_store_dword v[4:5], v16 offset:724
	v_add_u32_e32 v16, 6, v37
	s_waitcnt vmcnt(0)
	flat_store_dwordx4 v[4:5], v[28:31] offset:80
	flat_store_dword v[4:5], v16 offset:708
	flat_load_dword v16, v[2:3] offset:8
	s_mov_b64 s[2:3], exec
	flat_store_byte v[4:5], v10 offset:384
	s_waitcnt vmcnt(0) lgkmcnt(0)
	v_add_u32_e32 v11, v16, v11
	flat_store_dword v[4:5], v11 offset:704
	flat_load_dwordx4 v[24:27], v[6:7]
	s_waitcnt vmcnt(0) lgkmcnt(0)
	v_mov_b32_e32 v27, 0x20000
	v_and_b32_e32 v25, 0xffff, v25
.LBB1_31:                               ; =>This Inner Loop Header: Depth=1
	v_readfirstlane_b32 s4, v24
	v_readfirstlane_b32 s5, v25
	;; [unrolled: 1-line block ×4, first 2 shown]
	v_cmp_eq_u64_e32 vcc, s[4:5], v[24:25]
	s_nop 0
	v_cmp_eq_u64_e64 s[0:1], s[6:7], v[26:27]
	s_and_b64 s[0:1], vcc, s[0:1]
	s_and_saveexec_b64 s[0:1], s[0:1]
	buffer_load_dwordx4 v[28:31], v11, s[4:7], 0 offen
                                        ; implicit-def: $vgpr24_vgpr25_vgpr26_vgpr27
	s_xor_b64 exec, exec, s[0:1]
	s_cbranch_execnz .LBB1_31
; %bb.32:
	s_mov_b64 exec, s[2:3]
	v_add_u32_e32 v16, 7, v34
	flat_store_dword v[4:5], v16 offset:724
	v_add_u32_e32 v16, 7, v37
	s_waitcnt vmcnt(0)
	flat_store_dwordx4 v[4:5], v[28:31] offset:96
	flat_store_dword v[4:5], v16 offset:708
	flat_load_dword v16, v[2:3] offset:8
	s_mov_b64 s[2:3], exec
	s_waitcnt vmcnt(0) lgkmcnt(0)
	v_add_u32_e32 v11, v16, v11
	flat_store_dword v[4:5], v11 offset:704
	flat_load_dwordx4 v[24:27], v[6:7]
	s_waitcnt vmcnt(0) lgkmcnt(0)
	v_mov_b32_e32 v27, 0x20000
	flat_store_byte v[4:5], v10 offset:400
	v_and_b32_e32 v25, 0xffff, v25
.LBB1_33:                               ; =>This Inner Loop Header: Depth=1
	v_readfirstlane_b32 s4, v24
	v_readfirstlane_b32 s5, v25
	v_readfirstlane_b32 s6, v26
	v_readfirstlane_b32 s7, v27
	v_cmp_eq_u64_e32 vcc, s[4:5], v[24:25]
	s_nop 0
	v_cmp_eq_u64_e64 s[0:1], s[6:7], v[26:27]
	s_and_b64 s[0:1], vcc, s[0:1]
	s_and_saveexec_b64 s[0:1], s[0:1]
	buffer_load_dwordx4 v[28:31], v11, s[4:7], 0 offen
                                        ; implicit-def: $vgpr24_vgpr25_vgpr26_vgpr27
	s_xor_b64 exec, exec, s[0:1]
	s_cbranch_execnz .LBB1_33
; %bb.34:
	s_mov_b64 exec, s[2:3]
	v_accvgpr_read_b32 v16, a44
	s_waitcnt vmcnt(0)
	flat_store_dwordx4 v[4:5], v[28:31] offset:112
	v_accvgpr_read_b32 v17, a45
	flat_load_dwordx3 v[24:26], v[16:17]
	s_waitcnt vmcnt(0) lgkmcnt(0)
	v_add_u32_e32 v10, -7, v25
	v_add_u32_e32 v18, v25, v34
	v_add_u32_e32 v17, v33, v26
	;; [unrolled: 1-line block ×3, first 2 shown]
	v_cmp_ne_u32_e32 vcc, 0, v10
	flat_store_dwordx3 v[4:5], v[16:18] offset:716
	s_and_saveexec_b64 s[0:1], vcc
	s_cbranch_execz .LBB1_36
; %bb.35:
	v_add_u32_e32 v16, v37, v25
	flat_store_dword v[4:5], v16 offset:708
.LBB1_36:
	s_or_b64 exec, exec, s[0:1]
	v_or_b32_e32 v16, v26, v24
	v_mov_b32_e32 v28, 0
	v_cmp_ne_u32_e32 vcc, 0, v16
	s_and_saveexec_b64 s[0:1], vcc
	s_cbranch_execz .LBB1_38
; %bb.37:
	flat_load_dword v17, v[2:3] offset:24
	flat_load_dword v19, v[4:5] offset:712
	v_mov_b32_e32 v18, v26
	s_waitcnt vmcnt(0) lgkmcnt(0)
	v_mad_u64_u32 v[28:29], s[2:3], v17, v24, v[18:19]
	v_add_u32_e32 v17, v28, v19
	flat_store_dword v[4:5], v17 offset:712
.LBB1_38:
	s_or_b64 exec, exec, s[0:1]
	v_or_b32_e32 v16, v16, v10
	v_cmp_ne_u32_e32 vcc, 0, v16
	s_and_saveexec_b64 s[0:1], vcc
	s_cbranch_execz .LBB1_40
; %bb.39:
	flat_load_dword v16, v[2:3] offset:8
	s_waitcnt vmcnt(0) lgkmcnt(0)
	v_mul_lo_u32 v10, v16, v10
	v_add3_u32 v10, v11, v28, v10
	flat_store_dword v[4:5], v10 offset:704
.LBB1_40:
	s_or_b64 exec, exec, s[0:1]
	; sched_barrier mask(0x00000000)
	flat_load_ubyte v11, v[4:5] offset:304
	flat_load_ubyte v23, v[4:5] offset:320
	;; [unrolled: 1-line block ×7, first 2 shown]
	flat_load_dwordx4 v[16:19], v[4:5] offset:16
	flat_load_dwordx4 v[24:27], v[4:5] offset:32
	;; [unrolled: 1-line block ×7, first 2 shown]
	flat_load_dwordx4 v[64:67], v[4:5]
	flat_load_ubyte v81, v[4:5] offset:288
	flat_load_dword v10, v[4:5] offset:728
	s_waitcnt vmcnt(0) lgkmcnt(0)
	v_and_b32_e32 v11, 1, v11
	v_and_b32_e32 v23, 1, v23
	;; [unrolled: 1-line block ×7, first 2 shown]
	v_cmp_eq_u32_e32 vcc, 1, v11
	v_cmp_eq_u32_e64 s[0:1], 1, v23
	v_cmp_eq_u32_e64 s[2:3], 1, v68
	v_cndmask_b32_e32 v19, 0, v19, vcc
	v_cmp_eq_u32_e64 s[4:5], 1, v69
	v_cmp_eq_u32_e64 s[6:7], 1, v70
	;; [unrolled: 1-line block ×4, first 2 shown]
	v_cndmask_b32_e32 v18, 0, v18, vcc
	v_cndmask_b32_e32 v17, 0, v17, vcc
	;; [unrolled: 1-line block ×3, first 2 shown]
	v_cndmask_b32_e64 v27, 0, v27, s[0:1]
	v_cndmask_b32_e64 v31, 0, v31, s[2:3]
	;; [unrolled: 1-line block ×24, first 2 shown]
	flat_store_dwordx4 v[4:5], v[16:19] offset:16
	flat_store_dwordx4 v[4:5], v[24:27] offset:32
	;; [unrolled: 1-line block ×7, first 2 shown]
	flat_load_dwordx2 v[68:69], v[4:5] offset:28
	flat_load_dwordx2 v[82:83], v[4:5] offset:44
	;; [unrolled: 1-line block ×5, first 2 shown]
	s_nop 0
	flat_load_dwordx4 v[52:55], v[4:5] offset:108
	flat_load_dword v11, v[4:5] offset:124
	s_mov_b32 s0, 0x3020104
	v_and_b32_e32 v19, 1, v81
	v_perm_b32 v16, v16, v16, s0
	v_cmp_eq_u32_e32 vcc, 1, v19
	flat_store_dwordx3 v[4:5], v[16:18] offset:576
	v_mov_b32_e32 v70, v25
	v_cndmask_b32_e32 v19, 0, v67, vcc
	v_cndmask_b32_e32 v18, 0, v66, vcc
	;; [unrolled: 1-line block ×4, first 2 shown]
	v_mov_b32_e32 v71, v26
	v_mov_b32_e32 v84, v29
	;; [unrolled: 1-line block ×10, first 2 shown]
	s_mov_b64 s[2:3], exec
	flat_store_dwordx4 v[4:5], v[16:19]
	flat_store_dwordx4 v[4:5], v[16:19] offset:560
	s_waitcnt vmcnt(0) lgkmcnt(0)
	flat_store_dwordx4 v[4:5], v[68:71] offset:588
	flat_store_dwordx4 v[4:5], v[82:85] offset:604
	;; [unrolled: 1-line block ×6, first 2 shown]
	flat_store_dword v[4:5], v11 offset:684
	flat_load_dwordx2 v[24:25], v[8:9]
	v_ashrrev_i32_e32 v11, 31, v10
	s_waitcnt vmcnt(0) lgkmcnt(0)
	v_lshl_add_u64 v[10:11], v[24:25], 0, v[10:11]
	flat_store_dwordx4 v[10:11], v[16:19]
	flat_load_dword v10, v[4:5] offset:776
	s_nop 0
	flat_load_dwordx4 v[16:19], v[4:5] offset:748
	s_waitcnt vmcnt(0) lgkmcnt(0)
	flat_load_dword v17, v[4:5] offset:764
	flat_load_dword v18, v[4:5] offset:744
	flat_load_dwordx3 v[30:32], v[4:5] offset:728
	flat_load_dwordx4 v[24:27], v[4:5] offset:576
	v_add_u32_e32 v29, 1, v10
	s_waitcnt vmcnt(0) lgkmcnt(0)
	v_sub_u32_e32 v10, v29, v17
	v_add_u32_e32 v10, v18, v10
	v_sub_u32_e32 v11, v16, v19
	v_ashrrev_i32_e32 v16, 31, v10
	v_lshrrev_b32_e32 v16, 29, v16
	v_add_u32_e32 v16, v10, v16
	v_and_b32_e32 v16, -8, v16
	flat_store_dwordx2 v[4:5], v[10:11] offset:744
	v_sub_u32_e32 v17, v10, v32
	v_mov_b32_e32 v18, v10
	v_sub_u32_e32 v10, v10, v16
	v_lshlrev_b32_e32 v19, 7, v17
	v_xor_b32_e32 v17, v11, v10
	v_sub_u32_e32 v10, v17, v31
	v_lshlrev_b32_e32 v10, 4, v10
	v_add3_u32 v16, v19, v10, v30
	flat_store_dword v[4:5], v29 offset:776
	flat_store_dwordx2 v[4:5], v[28:29] offset:760
	flat_store_dwordx3 v[4:5], v[16:18] offset:728
	flat_load_dwordx2 v[10:11], v[8:9]
	s_nop 0
	v_ashrrev_i32_e32 v17, 31, v16
	s_waitcnt vmcnt(0) lgkmcnt(0)
	v_lshl_add_u64 v[10:11], v[10:11], 0, v[16:17]
	flat_store_dwordx4 v[10:11], v[24:27]
	flat_load_dword v10, v[4:5] offset:776
	s_nop 0
	flat_load_dwordx4 v[16:19], v[4:5] offset:748
	s_waitcnt vmcnt(0) lgkmcnt(0)
	flat_load_dword v17, v[4:5] offset:764
	flat_load_dword v18, v[4:5] offset:744
	flat_load_dwordx3 v[30:32], v[4:5] offset:728
	flat_load_dwordx4 v[24:27], v[4:5] offset:592
	v_add_u32_e32 v29, 1, v10
	s_waitcnt vmcnt(0) lgkmcnt(0)
	v_sub_u32_e32 v10, v29, v17
	v_add_u32_e32 v10, v18, v10
	v_sub_u32_e32 v11, v16, v19
	v_ashrrev_i32_e32 v16, 31, v10
	v_lshrrev_b32_e32 v16, 29, v16
	v_add_u32_e32 v16, v10, v16
	v_and_b32_e32 v16, -8, v16
	flat_store_dwordx2 v[4:5], v[10:11] offset:744
	v_sub_u32_e32 v17, v10, v32
	v_mov_b32_e32 v18, v10
	v_sub_u32_e32 v10, v10, v16
	v_lshlrev_b32_e32 v19, 7, v17
	v_xor_b32_e32 v17, v11, v10
	v_sub_u32_e32 v10, v17, v31
	v_lshlrev_b32_e32 v10, 4, v10
	v_add3_u32 v16, v19, v10, v30
	flat_store_dword v[4:5], v29 offset:776
	flat_store_dwordx2 v[4:5], v[28:29] offset:760
	flat_store_dwordx3 v[4:5], v[16:18] offset:728
	flat_load_dwordx2 v[10:11], v[8:9]
	s_nop 0
	;; [unrolled: 35-line block ×7, first 2 shown]
	v_ashrrev_i32_e32 v17, 31, v16
	s_waitcnt vmcnt(0) lgkmcnt(0)
	v_lshl_add_u64 v[10:11], v[10:11], 0, v[16:17]
	flat_store_dwordx4 v[10:11], v[24:27]
	flat_load_dword v11, v[4:5] offset:776
	s_nop 0
	flat_load_dwordx2 v[16:17], v[4:5] offset:760
	flat_load_dwordx2 v[18:19], v[4:5] offset:744
	;; [unrolled: 1-line block ×3, first 2 shown]
	flat_load_dwordx4 v[24:27], v[4:5] offset:716
	v_mov_b32_e32 v10, 1
	flat_store_byte v[4:5], v10 offset:288
	flat_load_dwordx2 v[36:37], v[4:5] offset:704
	s_waitcnt vmcnt(0) lgkmcnt(0)
	v_add_u32_e32 v29, -7, v11
	v_sub_u32_e32 v11, v29, v17
	v_add_u32_e32 v32, v18, v11
	v_ashrrev_i32_e32 v11, 31, v32
	v_lshrrev_b32_e32 v11, 29, v11
	v_add_u32_e32 v11, v32, v11
	v_and_b32_e32 v11, -8, v11
	v_sub_u32_e32 v33, v19, v16
	v_sub_u32_e32 v11, v32, v11
	v_xor_b32_e32 v17, v33, v11
	v_sub_u32_e32 v16, v32, v31
	v_sub_u32_e32 v11, v17, v30
	v_lshlrev_b32_e32 v16, 7, v16
	v_lshlrev_b32_e32 v11, 4, v11
	v_mov_b32_e32 v18, v32
	v_add3_u32 v16, v16, v11, v27
	flat_store_dword v[4:5], v29 offset:776
	flat_store_dwordx2 v[4:5], v[28:29] offset:760
	flat_store_dwordx2 v[4:5], v[32:33] offset:744
	flat_store_dwordx3 v[4:5], v[16:18] offset:728
	flat_load_dwordx4 v[28:31], v[6:7]
	s_waitcnt vmcnt(0) lgkmcnt(0)
	v_mov_b32_e32 v31, 0x20000
	v_and_b32_e32 v29, 0xffff, v29
.LBB1_41:                               ; =>This Inner Loop Header: Depth=1
	v_readfirstlane_b32 s4, v28
	v_readfirstlane_b32 s5, v29
	;; [unrolled: 1-line block ×4, first 2 shown]
	v_cmp_eq_u64_e32 vcc, s[4:5], v[28:29]
	s_nop 0
	v_cmp_eq_u64_e64 s[0:1], s[6:7], v[30:31]
	s_and_b64 s[0:1], vcc, s[0:1]
	s_and_saveexec_b64 s[0:1], s[0:1]
	buffer_load_dwordx4 v[32:35], v36, s[4:7], 0 offen
                                        ; implicit-def: $vgpr28_vgpr29_vgpr30_vgpr31
	s_xor_b64 exec, exec, s[0:1]
	s_cbranch_execnz .LBB1_41
; %bb.42:
	s_mov_b64 exec, s[2:3]
	v_add_u32_e32 v11, 1, v26
	flat_store_dword v[4:5], v11 offset:724
	v_add_u32_e32 v11, 1, v37
	s_waitcnt vmcnt(0)
	flat_store_dwordx4 v[4:5], v[32:35]
	flat_store_dword v[4:5], v11 offset:708
	flat_load_dword v11, v[2:3] offset:8
	s_mov_b64 s[2:3], exec
	flat_store_byte v[4:5], v10 offset:304
	s_waitcnt vmcnt(0) lgkmcnt(0)
	v_add_u32_e32 v11, v11, v36
	flat_store_dword v[4:5], v11 offset:704
	flat_load_dwordx4 v[28:31], v[6:7]
	s_waitcnt vmcnt(0) lgkmcnt(0)
	v_mov_b32_e32 v31, 0x20000
	v_and_b32_e32 v29, 0xffff, v29
.LBB1_43:                               ; =>This Inner Loop Header: Depth=1
	v_readfirstlane_b32 s4, v28
	v_readfirstlane_b32 s5, v29
	v_readfirstlane_b32 s6, v30
	v_readfirstlane_b32 s7, v31
	v_cmp_eq_u64_e32 vcc, s[4:5], v[28:29]
	s_nop 0
	v_cmp_eq_u64_e64 s[0:1], s[6:7], v[30:31]
	s_and_b64 s[0:1], vcc, s[0:1]
	s_and_saveexec_b64 s[0:1], s[0:1]
	buffer_load_dwordx4 v[32:35], v11, s[4:7], 0 offen
                                        ; implicit-def: $vgpr28_vgpr29_vgpr30_vgpr31
	s_xor_b64 exec, exec, s[0:1]
	s_cbranch_execnz .LBB1_43
; %bb.44:
	s_mov_b64 exec, s[2:3]
	v_add_u32_e32 v16, 2, v26
	flat_store_dword v[4:5], v16 offset:724
	v_add_u32_e32 v16, 2, v37
	s_waitcnt vmcnt(0)
	flat_store_dwordx4 v[4:5], v[32:35] offset:16
	flat_store_dword v[4:5], v16 offset:708
	flat_load_dword v16, v[2:3] offset:8
	s_mov_b64 s[2:3], exec
	flat_store_byte v[4:5], v10 offset:320
	s_waitcnt vmcnt(0) lgkmcnt(0)
	v_add_u32_e32 v11, v16, v11
	flat_store_dword v[4:5], v11 offset:704
	flat_load_dwordx4 v[28:31], v[6:7]
	s_waitcnt vmcnt(0) lgkmcnt(0)
	v_mov_b32_e32 v31, 0x20000
	v_and_b32_e32 v29, 0xffff, v29
.LBB1_45:                               ; =>This Inner Loop Header: Depth=1
	v_readfirstlane_b32 s4, v28
	v_readfirstlane_b32 s5, v29
	v_readfirstlane_b32 s6, v30
	v_readfirstlane_b32 s7, v31
	v_cmp_eq_u64_e32 vcc, s[4:5], v[28:29]
	s_nop 0
	v_cmp_eq_u64_e64 s[0:1], s[6:7], v[30:31]
	s_and_b64 s[0:1], vcc, s[0:1]
	s_and_saveexec_b64 s[0:1], s[0:1]
	buffer_load_dwordx4 v[32:35], v11, s[4:7], 0 offen
                                        ; implicit-def: $vgpr28_vgpr29_vgpr30_vgpr31
	s_xor_b64 exec, exec, s[0:1]
	s_cbranch_execnz .LBB1_45
; %bb.46:
	s_mov_b64 exec, s[2:3]
	v_add_u32_e32 v16, 3, v26
	flat_store_dword v[4:5], v16 offset:724
	v_add_u32_e32 v16, 3, v37
	s_waitcnt vmcnt(0)
	flat_store_dwordx4 v[4:5], v[32:35] offset:32
	;; [unrolled: 32-line block ×6, first 2 shown]
	flat_store_dword v[4:5], v16 offset:708
	flat_load_dword v16, v[2:3] offset:8
	s_mov_b64 s[2:3], exec
	s_waitcnt vmcnt(0) lgkmcnt(0)
	v_add_u32_e32 v11, v16, v11
	flat_store_dword v[4:5], v11 offset:704
	flat_load_dwordx4 v[28:31], v[6:7]
	s_waitcnt vmcnt(0) lgkmcnt(0)
	v_mov_b32_e32 v31, 0x20000
	flat_store_byte v[4:5], v10 offset:400
	v_and_b32_e32 v29, 0xffff, v29
.LBB1_55:                               ; =>This Inner Loop Header: Depth=1
	v_readfirstlane_b32 s4, v28
	v_readfirstlane_b32 s5, v29
	;; [unrolled: 1-line block ×4, first 2 shown]
	v_cmp_eq_u64_e32 vcc, s[4:5], v[28:29]
	s_nop 0
	v_cmp_eq_u64_e64 s[0:1], s[6:7], v[30:31]
	s_and_b64 s[0:1], vcc, s[0:1]
	s_and_saveexec_b64 s[0:1], s[0:1]
	buffer_load_dwordx4 v[32:35], v11, s[4:7], 0 offen
                                        ; implicit-def: $vgpr28_vgpr29_vgpr30_vgpr31
	s_xor_b64 exec, exec, s[0:1]
	s_cbranch_execnz .LBB1_55
; %bb.56:
	s_mov_b64 exec, s[2:3]
	v_accvgpr_read_b32 v16, a44
	s_waitcnt vmcnt(0)
	flat_store_dwordx4 v[4:5], v[32:35] offset:112
	v_accvgpr_read_b32 v17, a45
	flat_load_dwordx3 v[28:30], v[16:17]
	s_waitcnt vmcnt(0) lgkmcnt(0)
	v_add_u32_e32 v10, -7, v29
	v_add_u32_e32 v18, v29, v26
	v_add_u32_e32 v17, v25, v30
	;; [unrolled: 1-line block ×3, first 2 shown]
	v_cmp_ne_u32_e32 vcc, 0, v10
	flat_store_dwordx3 v[4:5], v[16:18] offset:716
	s_and_saveexec_b64 s[0:1], vcc
	s_cbranch_execz .LBB1_58
; %bb.57:
	v_add_u32_e32 v16, v37, v29
	flat_store_dword v[4:5], v16 offset:708
.LBB1_58:
	s_or_b64 exec, exec, s[0:1]
	v_or_b32_e32 v16, v30, v28
	v_mov_b32_e32 v24, 0
	v_cmp_ne_u32_e32 vcc, 0, v16
	s_and_saveexec_b64 s[0:1], vcc
	s_cbranch_execz .LBB1_60
; %bb.59:
	flat_load_dword v17, v[2:3] offset:24
	flat_load_dword v19, v[4:5] offset:712
	v_mov_b32_e32 v18, v30
	s_waitcnt vmcnt(0) lgkmcnt(0)
	v_mad_u64_u32 v[24:25], s[2:3], v17, v28, v[18:19]
	v_add_u32_e32 v17, v24, v19
	flat_store_dword v[4:5], v17 offset:712
.LBB1_60:
	s_or_b64 exec, exec, s[0:1]
	v_or_b32_e32 v16, v16, v10
	s_mov_b32 s12, 0
	v_cmp_ne_u32_e32 vcc, 0, v16
	s_and_saveexec_b64 s[0:1], vcc
	s_cbranch_execz .LBB1_62
; %bb.61:
	flat_load_dword v16, v[2:3] offset:8
	s_waitcnt vmcnt(0) lgkmcnt(0)
	v_mul_lo_u32 v10, v16, v10
	v_add3_u32 v10, v11, v24, v10
	flat_store_dword v[4:5], v10 offset:704
.LBB1_62:
	s_or_b64 exec, exec, s[0:1]
	s_waitcnt lgkmcnt(0)
	s_barrier
	flat_load_dwordx3 v[28:30], v[0:1] offset:1132
	flat_load_dwordx2 v[32:33], v[8:9]
	flat_load_dword v23, v[0:1] offset:1176
	flat_load_dword v31, v[0:1] offset:1184
	flat_load_dwordx2 v[34:35], v[0:1] offset:1184
	flat_load_dwordx4 v[24:27], v[0:1] offset:1152
	s_waitcnt vmcnt(0) lgkmcnt(0)
	flat_load_dword v25, v[0:1] offset:1148
	v_lshrrev_b32_e32 v26, 8, v150
	v_accvgpr_write_b32 a47, v26
	s_mov_b32 s16, 0x3060104
	s_mov_b32 s14, s12
	;; [unrolled: 1-line block ×3, first 2 shown]
	v_lshrrev_b64 v[106:107], 24, v[198:199]
	v_lshrrev_b64 v[104:105], 24, v[196:197]
	;; [unrolled: 1-line block ×12, first 2 shown]
	s_mov_b32 s13, s12
	v_lshrrev_b32_e32 v190, 24, v199
	v_lshrrev_b32_e32 v200, 16, v199
	;; [unrolled: 1-line block ×55, first 2 shown]
	v_ashrrev_i32_e32 v27, 31, v28
	v_mov_b32_e32 v26, v28
	v_lshl_add_u64 v[26:27], v[32:33], 0, v[26:27]
	v_lshrrev_b32_e32 v109, 24, v145
	v_lshrrev_b32_e32 v111, 16, v145
	v_sub_u32_e32 v23, v24, v23
	v_add_u32_e32 v24, 16, v35
	v_ashrrev_i32_e32 v34, 31, v24
	v_lshrrev_b32_e32 v34, 28, v34
	v_add_u32_e32 v34, v24, v34
	v_lshrrev_b32_e32 v35, 4, v34
	v_and_b32_e32 v34, -16, v34
	v_sub_u32_e32 v24, v24, v34
	s_waitcnt vmcnt(0) lgkmcnt(0)
	v_ashrrev_i32_e32 v34, 31, v25
	v_lshrrev_b32_e32 v34, 29, v34
	v_add_u32_e32 v34, v25, v34
	v_and_b32_e32 v34, 0xffffff8, v34
	v_add_u32_e32 v23, v23, v35
	v_sub_u32_e32 v34, v25, v34
	v_xor_b32_e32 v23, v23, v34
	v_sub_u32_e32 v25, v25, v30
	v_sub_u32_e32 v23, v23, v29
	v_lshl_add_u32 v25, v25, 7, v28
	v_lshlrev_b32_e32 v23, 4, v23
	v_sub_u32_e32 v25, v25, v31
	v_add3_u32 v24, v25, v24, v23
	v_ashrrev_i32_e32 v25, 31, v24
	v_lshl_add_u64 v[24:25], v[32:33], 0, v[24:25]
	flat_load_dwordx4 a[0:3], v[26:27]
	flat_load_dwordx4 a[4:7], v[24:25]
	v_mov_b32_e32 v26, v196
	;;#ASMSTART
	v_cvt_off_f32_i4 v27, v26
v_cvt_off_f32_i4 v28, v26, src0_sel:BYTE_2
v_cvt_pk_fp8_f32 v24, v27, v28
v_cvt_off_f32_i4 v27, v26, src0_sel:BYTE_1
v_cvt_off_f32_i4 v28, v26, src0_sel:BYTE_3
v_cvt_pk_fp8_f32 v25, v27, v28
v_lshrrev_b32 v29, 4, v26
v_cvt_off_f32_i4 v27, v29
v_cvt_off_f32_i4 v28, v29, src0_sel:BYTE_2
v_cvt_pk_fp8_f32 v24, v27, v28, op_sel:[0, 0, 1]
v_cvt_off_f32_i4 v27, v29, src0_sel:BYTE_1
v_cvt_off_f32_i4 v28, v29, src0_sel:BYTE_3
v_cvt_pk_fp8_f32 v25, v27, v28, op_sel:[0, 0, 1]

	;;#ASMEND
	v_perm_b32 v23, v199, v199, s16
	v_mov_b32_e32 v28, v197
	;;#ASMSTART
	v_cvt_off_f32_i4 v29, v28
v_cvt_off_f32_i4 v30, v28, src0_sel:BYTE_2
v_cvt_pk_fp8_f32 v26, v29, v30
v_cvt_off_f32_i4 v29, v28, src0_sel:BYTE_1
v_cvt_off_f32_i4 v30, v28, src0_sel:BYTE_3
v_cvt_pk_fp8_f32 v27, v29, v30
v_lshrrev_b32 v31, 4, v28
v_cvt_off_f32_i4 v29, v31
v_cvt_off_f32_i4 v30, v31, src0_sel:BYTE_2
v_cvt_pk_fp8_f32 v26, v29, v30, op_sel:[0, 0, 1]
v_cvt_off_f32_i4 v29, v31, src0_sel:BYTE_1
v_cvt_off_f32_i4 v30, v31, src0_sel:BYTE_3
v_cvt_pk_fp8_f32 v27, v29, v30, op_sel:[0, 0, 1]

	;;#ASMEND
	v_lshrrev_b32_e32 v127, 8, v145
	v_mov_b32_e32 v30, v198
	;;#ASMSTART
	v_cvt_off_f32_i4 v31, v30
v_cvt_off_f32_i4 v32, v30, src0_sel:BYTE_2
v_cvt_pk_fp8_f32 v28, v31, v32
v_cvt_off_f32_i4 v31, v30, src0_sel:BYTE_1
v_cvt_off_f32_i4 v32, v30, src0_sel:BYTE_3
v_cvt_pk_fp8_f32 v29, v31, v32
v_lshrrev_b32 v33, 4, v30
v_cvt_off_f32_i4 v31, v33
v_cvt_off_f32_i4 v32, v33, src0_sel:BYTE_2
v_cvt_pk_fp8_f32 v28, v31, v32, op_sel:[0, 0, 1]
v_cvt_off_f32_i4 v31, v33, src0_sel:BYTE_1
v_cvt_off_f32_i4 v32, v33, src0_sel:BYTE_3
v_cvt_pk_fp8_f32 v29, v31, v32, op_sel:[0, 0, 1]

	;;#ASMEND
	v_lshrrev_b32_e32 v125, 16, v144
	;;#ASMSTART
	v_cvt_off_f32_i4 v32, v23
v_cvt_off_f32_i4 v33, v23, src0_sel:BYTE_2
v_cvt_pk_fp8_f32 v30, v32, v33
v_cvt_off_f32_i4 v32, v23, src0_sel:BYTE_1
v_cvt_off_f32_i4 v33, v23, src0_sel:BYTE_3
v_cvt_pk_fp8_f32 v31, v32, v33
v_lshrrev_b32 v34, 4, v23
v_cvt_off_f32_i4 v32, v34
v_cvt_off_f32_i4 v33, v34, src0_sel:BYTE_2
v_cvt_pk_fp8_f32 v30, v32, v33, op_sel:[0, 0, 1]
v_cvt_off_f32_i4 v32, v34, src0_sel:BYTE_1
v_cvt_off_f32_i4 v33, v34, src0_sel:BYTE_3
v_cvt_pk_fp8_f32 v31, v32, v33, op_sel:[0, 0, 1]

	;;#ASMEND
	v_lshrrev_b32_e32 v158, 8, v144
	v_mov_b32_e32 v32, v192
	;;#ASMSTART
	v_cvt_off_f32_i4 v33, v32
v_cvt_off_f32_i4 v34, v32, src0_sel:BYTE_2
v_cvt_pk_fp8_f32 v48, v33, v34
v_cvt_off_f32_i4 v33, v32, src0_sel:BYTE_1
v_cvt_off_f32_i4 v34, v32, src0_sel:BYTE_3
v_cvt_pk_fp8_f32 v49, v33, v34
v_lshrrev_b32 v35, 4, v32
v_cvt_off_f32_i4 v33, v35
v_cvt_off_f32_i4 v34, v35, src0_sel:BYTE_2
v_cvt_pk_fp8_f32 v48, v33, v34, op_sel:[0, 0, 1]
v_cvt_off_f32_i4 v33, v35, src0_sel:BYTE_1
v_cvt_off_f32_i4 v34, v35, src0_sel:BYTE_3
v_cvt_pk_fp8_f32 v49, v33, v34, op_sel:[0, 0, 1]

	;;#ASMEND
	v_perm_b32 v23, v195, v195, s16
	v_mov_b32_e32 v32, v193
	;;#ASMSTART
	v_cvt_off_f32_i4 v33, v32
v_cvt_off_f32_i4 v34, v32, src0_sel:BYTE_2
v_cvt_pk_fp8_f32 v50, v33, v34
v_cvt_off_f32_i4 v33, v32, src0_sel:BYTE_1
v_cvt_off_f32_i4 v34, v32, src0_sel:BYTE_3
v_cvt_pk_fp8_f32 v51, v33, v34
v_lshrrev_b32 v35, 4, v32
v_cvt_off_f32_i4 v33, v35
v_cvt_off_f32_i4 v34, v35, src0_sel:BYTE_2
v_cvt_pk_fp8_f32 v50, v33, v34, op_sel:[0, 0, 1]
v_cvt_off_f32_i4 v33, v35, src0_sel:BYTE_1
v_cvt_off_f32_i4 v34, v35, src0_sel:BYTE_3
v_cvt_pk_fp8_f32 v51, v33, v34, op_sel:[0, 0, 1]

	;;#ASMEND
	v_lshrrev_b32_e32 v58, 24, v151
	v_mov_b32_e32 v32, v194
	;;#ASMSTART
	v_cvt_off_f32_i4 v33, v32
v_cvt_off_f32_i4 v34, v32, src0_sel:BYTE_2
v_cvt_pk_fp8_f32 v52, v33, v34
v_cvt_off_f32_i4 v33, v32, src0_sel:BYTE_1
v_cvt_off_f32_i4 v34, v32, src0_sel:BYTE_3
v_cvt_pk_fp8_f32 v53, v33, v34
v_lshrrev_b32 v35, 4, v32
v_cvt_off_f32_i4 v33, v35
v_cvt_off_f32_i4 v34, v35, src0_sel:BYTE_2
v_cvt_pk_fp8_f32 v52, v33, v34, op_sel:[0, 0, 1]
v_cvt_off_f32_i4 v33, v35, src0_sel:BYTE_1
v_cvt_off_f32_i4 v34, v35, src0_sel:BYTE_3
v_cvt_pk_fp8_f32 v53, v33, v34, op_sel:[0, 0, 1]

	;;#ASMEND
	v_lshrrev_b32_e32 v59, 16, v151
	;;#ASMSTART
	v_cvt_off_f32_i4 v32, v23
v_cvt_off_f32_i4 v33, v23, src0_sel:BYTE_2
v_cvt_pk_fp8_f32 v54, v32, v33
v_cvt_off_f32_i4 v32, v23, src0_sel:BYTE_1
v_cvt_off_f32_i4 v33, v23, src0_sel:BYTE_3
v_cvt_pk_fp8_f32 v55, v32, v33
v_lshrrev_b32 v34, 4, v23
v_cvt_off_f32_i4 v32, v34
v_cvt_off_f32_i4 v33, v34, src0_sel:BYTE_2
v_cvt_pk_fp8_f32 v54, v32, v33, op_sel:[0, 0, 1]
v_cvt_off_f32_i4 v32, v34, src0_sel:BYTE_1
v_cvt_off_f32_i4 v33, v34, src0_sel:BYTE_3
v_cvt_pk_fp8_f32 v55, v32, v33, op_sel:[0, 0, 1]

	;;#ASMEND
	v_lshrrev_b32_e32 v73, 8, v151
	v_mov_b32_e32 v32, v180
	;;#ASMSTART
	v_cvt_off_f32_i4 v33, v32
v_cvt_off_f32_i4 v34, v32, src0_sel:BYTE_2
v_cvt_pk_fp8_f32 v64, v33, v34
v_cvt_off_f32_i4 v33, v32, src0_sel:BYTE_1
v_cvt_off_f32_i4 v34, v32, src0_sel:BYTE_3
v_cvt_pk_fp8_f32 v65, v33, v34
v_lshrrev_b32 v35, 4, v32
v_cvt_off_f32_i4 v33, v35
v_cvt_off_f32_i4 v34, v35, src0_sel:BYTE_2
v_cvt_pk_fp8_f32 v64, v33, v34, op_sel:[0, 0, 1]
v_cvt_off_f32_i4 v33, v35, src0_sel:BYTE_1
v_cvt_off_f32_i4 v34, v35, src0_sel:BYTE_3
v_cvt_pk_fp8_f32 v65, v33, v34, op_sel:[0, 0, 1]

	;;#ASMEND
	v_perm_b32 v23, v183, v183, s16
	v_mov_b32_e32 v32, v181
	;;#ASMSTART
	v_cvt_off_f32_i4 v33, v32
v_cvt_off_f32_i4 v34, v32, src0_sel:BYTE_2
v_cvt_pk_fp8_f32 v66, v33, v34
v_cvt_off_f32_i4 v33, v32, src0_sel:BYTE_1
v_cvt_off_f32_i4 v34, v32, src0_sel:BYTE_3
v_cvt_pk_fp8_f32 v67, v33, v34
v_lshrrev_b32 v35, 4, v32
v_cvt_off_f32_i4 v33, v35
v_cvt_off_f32_i4 v34, v35, src0_sel:BYTE_2
v_cvt_pk_fp8_f32 v66, v33, v34, op_sel:[0, 0, 1]
v_cvt_off_f32_i4 v33, v35, src0_sel:BYTE_1
v_cvt_off_f32_i4 v34, v35, src0_sel:BYTE_3
v_cvt_pk_fp8_f32 v67, v33, v34, op_sel:[0, 0, 1]

	;;#ASMEND
	v_lshrrev_b32_e32 v79, 16, v150
	v_mov_b32_e32 v32, v182
	;;#ASMSTART
	v_cvt_off_f32_i4 v33, v32
v_cvt_off_f32_i4 v34, v32, src0_sel:BYTE_2
v_cvt_pk_fp8_f32 v68, v33, v34
v_cvt_off_f32_i4 v33, v32, src0_sel:BYTE_1
v_cvt_off_f32_i4 v34, v32, src0_sel:BYTE_3
v_cvt_pk_fp8_f32 v69, v33, v34
v_lshrrev_b32 v35, 4, v32
v_cvt_off_f32_i4 v33, v35
v_cvt_off_f32_i4 v34, v35, src0_sel:BYTE_2
v_cvt_pk_fp8_f32 v68, v33, v34, op_sel:[0, 0, 1]
v_cvt_off_f32_i4 v33, v35, src0_sel:BYTE_1
v_cvt_off_f32_i4 v34, v35, src0_sel:BYTE_3
v_cvt_pk_fp8_f32 v69, v33, v34, op_sel:[0, 0, 1]

	;;#ASMEND
	v_lshrrev_b32_e32 v62, 24, v149
	;;#ASMSTART
	v_cvt_off_f32_i4 v32, v23
v_cvt_off_f32_i4 v33, v23, src0_sel:BYTE_2
v_cvt_pk_fp8_f32 v70, v32, v33
v_cvt_off_f32_i4 v32, v23, src0_sel:BYTE_1
v_cvt_off_f32_i4 v33, v23, src0_sel:BYTE_3
v_cvt_pk_fp8_f32 v71, v32, v33
v_lshrrev_b32 v34, 4, v23
v_cvt_off_f32_i4 v32, v34
v_cvt_off_f32_i4 v33, v34, src0_sel:BYTE_2
v_cvt_pk_fp8_f32 v70, v32, v33, op_sel:[0, 0, 1]
v_cvt_off_f32_i4 v32, v34, src0_sel:BYTE_1
v_cvt_off_f32_i4 v33, v34, src0_sel:BYTE_3
v_cvt_pk_fp8_f32 v71, v32, v33, op_sel:[0, 0, 1]

	;;#ASMEND
	v_lshrrev_b32_e32 v74, 16, v149
	v_mov_b32_e32 v32, v176
	;;#ASMSTART
	v_cvt_off_f32_i4 v33, v32
v_cvt_off_f32_i4 v34, v32, src0_sel:BYTE_2
v_cvt_pk_fp8_f32 v80, v33, v34
v_cvt_off_f32_i4 v33, v32, src0_sel:BYTE_1
v_cvt_off_f32_i4 v34, v32, src0_sel:BYTE_3
v_cvt_pk_fp8_f32 v81, v33, v34
v_lshrrev_b32 v35, 4, v32
v_cvt_off_f32_i4 v33, v35
v_cvt_off_f32_i4 v34, v35, src0_sel:BYTE_2
v_cvt_pk_fp8_f32 v80, v33, v34, op_sel:[0, 0, 1]
v_cvt_off_f32_i4 v33, v35, src0_sel:BYTE_1
v_cvt_off_f32_i4 v34, v35, src0_sel:BYTE_3
v_cvt_pk_fp8_f32 v81, v33, v34, op_sel:[0, 0, 1]

	;;#ASMEND
	v_perm_b32 v23, v179, v179, s16
	v_mov_b32_e32 v32, v177
	;;#ASMSTART
	v_cvt_off_f32_i4 v33, v32
v_cvt_off_f32_i4 v34, v32, src0_sel:BYTE_2
v_cvt_pk_fp8_f32 v82, v33, v34
v_cvt_off_f32_i4 v33, v32, src0_sel:BYTE_1
v_cvt_off_f32_i4 v34, v32, src0_sel:BYTE_3
v_cvt_pk_fp8_f32 v83, v33, v34
v_lshrrev_b32 v35, 4, v32
v_cvt_off_f32_i4 v33, v35
v_cvt_off_f32_i4 v34, v35, src0_sel:BYTE_2
v_cvt_pk_fp8_f32 v82, v33, v34, op_sel:[0, 0, 1]
v_cvt_off_f32_i4 v33, v35, src0_sel:BYTE_1
v_cvt_off_f32_i4 v34, v35, src0_sel:BYTE_3
v_cvt_pk_fp8_f32 v83, v33, v34, op_sel:[0, 0, 1]

	;;#ASMEND
	v_lshrrev_b32_e32 v153, 8, v149
	v_mov_b32_e32 v32, v178
	;;#ASMSTART
	v_cvt_off_f32_i4 v33, v32
v_cvt_off_f32_i4 v34, v32, src0_sel:BYTE_2
v_cvt_pk_fp8_f32 v84, v33, v34
v_cvt_off_f32_i4 v33, v32, src0_sel:BYTE_1
v_cvt_off_f32_i4 v34, v32, src0_sel:BYTE_3
v_cvt_pk_fp8_f32 v85, v33, v34
v_lshrrev_b32 v35, 4, v32
v_cvt_off_f32_i4 v33, v35
v_cvt_off_f32_i4 v34, v35, src0_sel:BYTE_2
v_cvt_pk_fp8_f32 v84, v33, v34, op_sel:[0, 0, 1]
v_cvt_off_f32_i4 v33, v35, src0_sel:BYTE_1
v_cvt_off_f32_i4 v34, v35, src0_sel:BYTE_3
v_cvt_pk_fp8_f32 v85, v33, v34, op_sel:[0, 0, 1]

	;;#ASMEND
	v_lshrrev_b32_e32 v139, 16, v148
	;;#ASMSTART
	v_cvt_off_f32_i4 v32, v23
v_cvt_off_f32_i4 v33, v23, src0_sel:BYTE_2
v_cvt_pk_fp8_f32 v86, v32, v33
v_cvt_off_f32_i4 v32, v23, src0_sel:BYTE_1
v_cvt_off_f32_i4 v33, v23, src0_sel:BYTE_3
v_cvt_pk_fp8_f32 v87, v32, v33
v_lshrrev_b32 v34, 4, v23
v_cvt_off_f32_i4 v32, v34
v_cvt_off_f32_i4 v33, v34, src0_sel:BYTE_2
v_cvt_pk_fp8_f32 v86, v32, v33, op_sel:[0, 0, 1]
v_cvt_off_f32_i4 v32, v34, src0_sel:BYTE_1
v_cvt_off_f32_i4 v33, v34, src0_sel:BYTE_3
v_cvt_pk_fp8_f32 v87, v32, v33, op_sel:[0, 0, 1]

	;;#ASMEND
	v_lshrrev_b32_e32 v175, 8, v148
	v_mov_b32_e32 v32, v164
	;;#ASMSTART
	v_cvt_off_f32_i4 v33, v32
v_cvt_off_f32_i4 v34, v32, src0_sel:BYTE_2
v_cvt_pk_fp8_f32 v96, v33, v34
v_cvt_off_f32_i4 v33, v32, src0_sel:BYTE_1
v_cvt_off_f32_i4 v34, v32, src0_sel:BYTE_3
v_cvt_pk_fp8_f32 v97, v33, v34
v_lshrrev_b32 v35, 4, v32
v_cvt_off_f32_i4 v33, v35
v_cvt_off_f32_i4 v34, v35, src0_sel:BYTE_2
v_cvt_pk_fp8_f32 v96, v33, v34, op_sel:[0, 0, 1]
v_cvt_off_f32_i4 v33, v35, src0_sel:BYTE_1
v_cvt_off_f32_i4 v34, v35, src0_sel:BYTE_3
v_cvt_pk_fp8_f32 v97, v33, v34, op_sel:[0, 0, 1]

	;;#ASMEND
	v_perm_b32 v23, v167, v167, s16
	v_mov_b32_e32 v32, v165
	;;#ASMSTART
	v_cvt_off_f32_i4 v33, v32
v_cvt_off_f32_i4 v34, v32, src0_sel:BYTE_2
v_cvt_pk_fp8_f32 v98, v33, v34
v_cvt_off_f32_i4 v33, v32, src0_sel:BYTE_1
v_cvt_off_f32_i4 v34, v32, src0_sel:BYTE_3
v_cvt_pk_fp8_f32 v99, v33, v34
v_lshrrev_b32 v35, 4, v32
v_cvt_off_f32_i4 v33, v35
v_cvt_off_f32_i4 v34, v35, src0_sel:BYTE_2
v_cvt_pk_fp8_f32 v98, v33, v34, op_sel:[0, 0, 1]
v_cvt_off_f32_i4 v33, v35, src0_sel:BYTE_1
v_cvt_off_f32_i4 v34, v35, src0_sel:BYTE_3
v_cvt_pk_fp8_f32 v99, v33, v34, op_sel:[0, 0, 1]

	;;#ASMEND
	v_lshrrev_b64 v[94:95], 24, v[150:151]
	v_mov_b32_e32 v32, v166
	;;#ASMSTART
	v_cvt_off_f32_i4 v33, v32
v_cvt_off_f32_i4 v34, v32, src0_sel:BYTE_2
v_cvt_pk_fp8_f32 v100, v33, v34
v_cvt_off_f32_i4 v33, v32, src0_sel:BYTE_1
v_cvt_off_f32_i4 v34, v32, src0_sel:BYTE_3
v_cvt_pk_fp8_f32 v101, v33, v34
v_lshrrev_b32 v35, 4, v32
v_cvt_off_f32_i4 v33, v35
v_cvt_off_f32_i4 v34, v35, src0_sel:BYTE_2
v_cvt_pk_fp8_f32 v100, v33, v34, op_sel:[0, 0, 1]
v_cvt_off_f32_i4 v33, v35, src0_sel:BYTE_1
v_cvt_off_f32_i4 v34, v35, src0_sel:BYTE_3
v_cvt_pk_fp8_f32 v101, v33, v34, op_sel:[0, 0, 1]

	;;#ASMEND
	v_lshrrev_b64 v[92:93], 24, v[148:149]
	;;#ASMSTART
	v_cvt_off_f32_i4 v32, v23
v_cvt_off_f32_i4 v33, v23, src0_sel:BYTE_2
v_cvt_pk_fp8_f32 v102, v32, v33
v_cvt_off_f32_i4 v32, v23, src0_sel:BYTE_1
v_cvt_off_f32_i4 v33, v23, src0_sel:BYTE_3
v_cvt_pk_fp8_f32 v103, v32, v33
v_lshrrev_b32 v34, 4, v23
v_cvt_off_f32_i4 v32, v34
v_cvt_off_f32_i4 v33, v34, src0_sel:BYTE_2
v_cvt_pk_fp8_f32 v102, v32, v33, op_sel:[0, 0, 1]
v_cvt_off_f32_i4 v32, v34, src0_sel:BYTE_1
v_cvt_off_f32_i4 v33, v34, src0_sel:BYTE_3
v_cvt_pk_fp8_f32 v103, v32, v33, op_sel:[0, 0, 1]

	;;#ASMEND
	v_lshrrev_b32_e32 v159, 24, v163
	v_mov_b32_e32 v32, v144
	;;#ASMSTART
	v_cvt_off_f32_i4 v33, v32
v_cvt_off_f32_i4 v34, v32, src0_sel:BYTE_2
v_cvt_pk_fp8_f32 v112, v33, v34
v_cvt_off_f32_i4 v33, v32, src0_sel:BYTE_1
v_cvt_off_f32_i4 v34, v32, src0_sel:BYTE_3
v_cvt_pk_fp8_f32 v113, v33, v34
v_lshrrev_b32 v35, 4, v32
v_cvt_off_f32_i4 v33, v35
v_cvt_off_f32_i4 v34, v35, src0_sel:BYTE_2
v_cvt_pk_fp8_f32 v112, v33, v34, op_sel:[0, 0, 1]
v_cvt_off_f32_i4 v33, v35, src0_sel:BYTE_1
v_cvt_off_f32_i4 v34, v35, src0_sel:BYTE_3
v_cvt_pk_fp8_f32 v113, v33, v34, op_sel:[0, 0, 1]

	;;#ASMEND
	v_perm_b32 v23, v147, v147, s16
	v_mov_b32_e32 v32, v145
	;;#ASMSTART
	v_cvt_off_f32_i4 v33, v32
v_cvt_off_f32_i4 v34, v32, src0_sel:BYTE_2
v_cvt_pk_fp8_f32 v114, v33, v34
v_cvt_off_f32_i4 v33, v32, src0_sel:BYTE_1
v_cvt_off_f32_i4 v34, v32, src0_sel:BYTE_3
v_cvt_pk_fp8_f32 v115, v33, v34
v_lshrrev_b32 v35, 4, v32
v_cvt_off_f32_i4 v33, v35
v_cvt_off_f32_i4 v34, v35, src0_sel:BYTE_2
v_cvt_pk_fp8_f32 v114, v33, v34, op_sel:[0, 0, 1]
v_cvt_off_f32_i4 v33, v35, src0_sel:BYTE_1
v_cvt_off_f32_i4 v34, v35, src0_sel:BYTE_3
v_cvt_pk_fp8_f32 v115, v33, v34, op_sel:[0, 0, 1]

	;;#ASMEND
	v_lshrrev_b32_e32 v169, 16, v163
	v_mov_b32_e32 v32, v146
	;;#ASMSTART
	v_cvt_off_f32_i4 v33, v32
v_cvt_off_f32_i4 v34, v32, src0_sel:BYTE_2
v_cvt_pk_fp8_f32 v116, v33, v34
v_cvt_off_f32_i4 v33, v32, src0_sel:BYTE_1
v_cvt_off_f32_i4 v34, v32, src0_sel:BYTE_3
v_cvt_pk_fp8_f32 v117, v33, v34
v_lshrrev_b32 v35, 4, v32
v_cvt_off_f32_i4 v33, v35
v_cvt_off_f32_i4 v34, v35, src0_sel:BYTE_2
v_cvt_pk_fp8_f32 v116, v33, v34, op_sel:[0, 0, 1]
v_cvt_off_f32_i4 v33, v35, src0_sel:BYTE_1
v_cvt_off_f32_i4 v34, v35, src0_sel:BYTE_3
v_cvt_pk_fp8_f32 v117, v33, v34, op_sel:[0, 0, 1]

	;;#ASMEND
	v_lshrrev_b32_e32 v168, 8, v163
	;;#ASMSTART
	v_cvt_off_f32_i4 v32, v23
v_cvt_off_f32_i4 v33, v23, src0_sel:BYTE_2
v_cvt_pk_fp8_f32 v118, v32, v33
v_cvt_off_f32_i4 v32, v23, src0_sel:BYTE_1
v_cvt_off_f32_i4 v33, v23, src0_sel:BYTE_3
v_cvt_pk_fp8_f32 v119, v32, v33
v_lshrrev_b32 v34, 4, v23
v_cvt_off_f32_i4 v32, v34
v_cvt_off_f32_i4 v33, v34, src0_sel:BYTE_2
v_cvt_pk_fp8_f32 v118, v32, v33, op_sel:[0, 0, 1]
v_cvt_off_f32_i4 v32, v34, src0_sel:BYTE_1
v_cvt_off_f32_i4 v33, v34, src0_sel:BYTE_3
v_cvt_pk_fp8_f32 v119, v32, v33, op_sel:[0, 0, 1]

	;;#ASMEND
	v_lshrrev_b32_e32 v170, 16, v162
	v_mov_b32_e32 v32, v148
	;;#ASMSTART
	v_cvt_off_f32_i4 v33, v32
v_cvt_off_f32_i4 v34, v32, src0_sel:BYTE_2
v_cvt_pk_fp8_f32 v128, v33, v34
v_cvt_off_f32_i4 v33, v32, src0_sel:BYTE_1
v_cvt_off_f32_i4 v34, v32, src0_sel:BYTE_3
v_cvt_pk_fp8_f32 v129, v33, v34
v_lshrrev_b32 v35, 4, v32
v_cvt_off_f32_i4 v33, v35
v_cvt_off_f32_i4 v34, v35, src0_sel:BYTE_2
v_cvt_pk_fp8_f32 v128, v33, v34, op_sel:[0, 0, 1]
v_cvt_off_f32_i4 v33, v35, src0_sel:BYTE_1
v_cvt_off_f32_i4 v34, v35, src0_sel:BYTE_3
v_cvt_pk_fp8_f32 v129, v33, v34, op_sel:[0, 0, 1]

	;;#ASMEND
	v_perm_b32 v23, v151, v151, s16
	v_mov_b32_e32 v32, v149
	;;#ASMSTART
	v_cvt_off_f32_i4 v33, v32
v_cvt_off_f32_i4 v34, v32, src0_sel:BYTE_2
v_cvt_pk_fp8_f32 v130, v33, v34
v_cvt_off_f32_i4 v33, v32, src0_sel:BYTE_1
v_cvt_off_f32_i4 v34, v32, src0_sel:BYTE_3
v_cvt_pk_fp8_f32 v131, v33, v34
v_lshrrev_b32 v35, 4, v32
v_cvt_off_f32_i4 v33, v35
v_cvt_off_f32_i4 v34, v35, src0_sel:BYTE_2
v_cvt_pk_fp8_f32 v130, v33, v34, op_sel:[0, 0, 1]
v_cvt_off_f32_i4 v33, v35, src0_sel:BYTE_1
v_cvt_off_f32_i4 v34, v35, src0_sel:BYTE_3
v_cvt_pk_fp8_f32 v131, v33, v34, op_sel:[0, 0, 1]

	;;#ASMEND
	v_lshrrev_b32_e32 v173, 8, v162
	v_mov_b32_e32 v32, v150
	;;#ASMSTART
	v_cvt_off_f32_i4 v33, v32
v_cvt_off_f32_i4 v34, v32, src0_sel:BYTE_2
v_cvt_pk_fp8_f32 v132, v33, v34
v_cvt_off_f32_i4 v33, v32, src0_sel:BYTE_1
v_cvt_off_f32_i4 v34, v32, src0_sel:BYTE_3
v_cvt_pk_fp8_f32 v133, v33, v34
v_lshrrev_b32 v35, 4, v32
v_cvt_off_f32_i4 v33, v35
v_cvt_off_f32_i4 v34, v35, src0_sel:BYTE_2
v_cvt_pk_fp8_f32 v132, v33, v34, op_sel:[0, 0, 1]
v_cvt_off_f32_i4 v33, v35, src0_sel:BYTE_1
v_cvt_off_f32_i4 v34, v35, src0_sel:BYTE_3
v_cvt_pk_fp8_f32 v133, v33, v34, op_sel:[0, 0, 1]

	;;#ASMEND
	v_lshrrev_b32_e32 v171, 24, v161
	;;#ASMSTART
	v_cvt_off_f32_i4 v32, v23
v_cvt_off_f32_i4 v33, v23, src0_sel:BYTE_2
v_cvt_pk_fp8_f32 v134, v32, v33
v_cvt_off_f32_i4 v32, v23, src0_sel:BYTE_1
v_cvt_off_f32_i4 v33, v23, src0_sel:BYTE_3
v_cvt_pk_fp8_f32 v135, v32, v33
v_lshrrev_b32 v34, 4, v23
v_cvt_off_f32_i4 v32, v34
v_cvt_off_f32_i4 v33, v34, src0_sel:BYTE_2
v_cvt_pk_fp8_f32 v134, v32, v33, op_sel:[0, 0, 1]
v_cvt_off_f32_i4 v32, v34, src0_sel:BYTE_1
v_cvt_off_f32_i4 v33, v34, src0_sel:BYTE_3
v_cvt_pk_fp8_f32 v135, v32, v33, op_sel:[0, 0, 1]

	;;#ASMEND
	v_lshrrev_b32_e32 v172, 16, v161
	v_mov_b32_e32 v34, v160
	;;#ASMSTART
	v_cvt_off_f32_i4 v35, v34
v_cvt_off_f32_i4 v36, v34, src0_sel:BYTE_2
v_cvt_pk_fp8_f32 v32, v35, v36
v_cvt_off_f32_i4 v35, v34, src0_sel:BYTE_1
v_cvt_off_f32_i4 v36, v34, src0_sel:BYTE_3
v_cvt_pk_fp8_f32 v33, v35, v36
v_lshrrev_b32 v37, 4, v34
v_cvt_off_f32_i4 v35, v37
v_cvt_off_f32_i4 v36, v37, src0_sel:BYTE_2
v_cvt_pk_fp8_f32 v32, v35, v36, op_sel:[0, 0, 1]
v_cvt_off_f32_i4 v35, v37, src0_sel:BYTE_1
v_cvt_off_f32_i4 v36, v37, src0_sel:BYTE_3
v_cvt_pk_fp8_f32 v33, v35, v36, op_sel:[0, 0, 1]

	;;#ASMEND
	v_perm_b32 v23, v163, v163, s16
	v_mov_b32_e32 v36, v161
	;;#ASMSTART
	v_cvt_off_f32_i4 v37, v36
v_cvt_off_f32_i4 v38, v36, src0_sel:BYTE_2
v_cvt_pk_fp8_f32 v34, v37, v38
v_cvt_off_f32_i4 v37, v36, src0_sel:BYTE_1
v_cvt_off_f32_i4 v38, v36, src0_sel:BYTE_3
v_cvt_pk_fp8_f32 v35, v37, v38
v_lshrrev_b32 v39, 4, v36
v_cvt_off_f32_i4 v37, v39
v_cvt_off_f32_i4 v38, v39, src0_sel:BYTE_2
v_cvt_pk_fp8_f32 v34, v37, v38, op_sel:[0, 0, 1]
v_cvt_off_f32_i4 v37, v39, src0_sel:BYTE_1
v_cvt_off_f32_i4 v38, v39, src0_sel:BYTE_3
v_cvt_pk_fp8_f32 v35, v37, v38, op_sel:[0, 0, 1]

	;;#ASMEND
	v_lshrrev_b32_e32 v174, 8, v161
	v_mov_b32_e32 v38, v162
	;;#ASMSTART
	v_cvt_off_f32_i4 v39, v38
v_cvt_off_f32_i4 v208, v38, src0_sel:BYTE_2
v_cvt_pk_fp8_f32 v36, v39, v208
v_cvt_off_f32_i4 v39, v38, src0_sel:BYTE_1
v_cvt_off_f32_i4 v208, v38, src0_sel:BYTE_3
v_cvt_pk_fp8_f32 v37, v39, v208
v_lshrrev_b32 v209, 4, v38
v_cvt_off_f32_i4 v39, v209
v_cvt_off_f32_i4 v208, v209, src0_sel:BYTE_2
v_cvt_pk_fp8_f32 v36, v39, v208, op_sel:[0, 0, 1]
v_cvt_off_f32_i4 v39, v209, src0_sel:BYTE_1
v_cvt_off_f32_i4 v208, v209, src0_sel:BYTE_3
v_cvt_pk_fp8_f32 v37, v39, v208, op_sel:[0, 0, 1]

	;;#ASMEND
	v_lshrrev_b32_e32 v184, 16, v160
	;;#ASMSTART
	v_cvt_off_f32_i4 v208, v23
v_cvt_off_f32_i4 v209, v23, src0_sel:BYTE_2
v_cvt_pk_fp8_f32 v38, v208, v209
v_cvt_off_f32_i4 v208, v23, src0_sel:BYTE_1
v_cvt_off_f32_i4 v209, v23, src0_sel:BYTE_3
v_cvt_pk_fp8_f32 v39, v208, v209
v_lshrrev_b32 v210, 4, v23
v_cvt_off_f32_i4 v208, v210
v_cvt_off_f32_i4 v209, v210, src0_sel:BYTE_2
v_cvt_pk_fp8_f32 v38, v208, v209, op_sel:[0, 0, 1]
v_cvt_off_f32_i4 v208, v210, src0_sel:BYTE_1
v_cvt_off_f32_i4 v209, v210, src0_sel:BYTE_3
v_cvt_pk_fp8_f32 v39, v208, v209, op_sel:[0, 0, 1]

	;;#ASMEND
	v_lshrrev_b32_e32 v188, 8, v160
	v_mov_b64_e32 v[210:211], s[14:15]
	v_lshrrev_b64 v[90:91], 24, v[162:163]
	v_lshrrev_b64 v[88:89], 24, v[160:161]
	v_mov_b64_e32 v[208:209], s[12:13]
	flat_store_dwordx4 v[20:21], v[208:211]
	flat_store_dwordx4 v[20:21], v[208:211] offset:16
	flat_store_dwordx4 v[20:21], v[208:211] offset:32
	;; [unrolled: 1-line block ×63, first 2 shown]
	; sched_barrier mask(0x00000000)
	v_add_u32_e32 v22, -2, v22
	v_accvgpr_write_b32 a46, v22
	s_mov_b64 s[14:15], 0
	v_mov_b32_e32 v75, 0
	v_mov_b32_e32 v77, 0x20000
	s_mov_b32 s13, 0xc0c0004
	s_mov_b32 s17, 0x3020104
	;; [unrolled: 1-line block ×3, first 2 shown]
	s_movk_i32 s19, 0x60
	s_movk_i32 s20, 0x80
	;; [unrolled: 1-line block ×5, first 2 shown]
	s_branch .LBB1_64
.LBB1_63:                               ;   in Loop: Header=BB1_64 Depth=1
	s_or_b64 exec, exec, s[0:1]
	flat_load_dwordx4 a[8:11], v[20:21] offset:256
	v_lshrrev_b64 v[106:107], 24, v[198:199]
	v_lshrrev_b64 v[104:105], 24, v[196:197]
	;; [unrolled: 1-line block ×12, first 2 shown]
	v_lshrrev_b32_e32 v190, 24, v199
	v_lshrrev_b32_e32 v200, 16, v199
	;; [unrolled: 1-line block ×67, first 2 shown]
	s_waitcnt vmcnt(0) lgkmcnt(0)
	v_mfma_f32_16x16x128_f8f6f4 a[8:11], a[0:7], v[112:119], a[8:11]
	flat_load_dwordx4 a[12:15], v[20:21] offset:272
	v_lshrrev_b32_e32 v139, 16, v148
	v_lshrrev_b32_e32 v175, 8, v148
	;; [unrolled: 1-line block ×11, first 2 shown]
	flat_store_dwordx4 v[20:21], a[8:11] offset:256
	v_lshrrev_b32_e32 v188, 8, v160
	v_lshrrev_b64 v[94:95], 24, v[150:151]
	v_lshrrev_b64 v[92:93], 24, v[148:149]
	;; [unrolled: 1-line block ×4, first 2 shown]
	; sched_group_barrier mask(0x00000008) size(0) SyncID(0)
	; sched_group_barrier mask(0x00000020) size(1) SyncID(0)
	;; [unrolled: 1-line block ×6, first 2 shown]
	s_waitcnt vmcnt(0) lgkmcnt(0)
	v_mfma_f32_16x16x128_f8f6f4 a[12:15], a[0:7], v[128:135], a[12:15]
	flat_load_dwordx4 a[16:19], v[20:21] offset:336
	; sched_group_barrier mask(0x00000008) size(1) SyncID(0)
	; sched_group_barrier mask(0x00000100) size(1) SyncID(0)
	s_nop 10
	flat_store_dwordx4 v[20:21], a[12:15] offset:272
	s_waitcnt vmcnt(0) lgkmcnt(0)
	v_mfma_f32_16x16x128_f8f6f4 a[16:19], a[0:7], v[64:71], a[16:19]
	flat_load_dwordx4 a[20:23], v[20:21] offset:352
	s_nop 10
	flat_store_dwordx4 v[20:21], a[16:19] offset:336
	s_waitcnt vmcnt(0) lgkmcnt(0)
	v_mfma_f32_16x16x128_f8f6f4 a[20:23], a[0:7], v[80:87], a[20:23]
	flat_load_dwordx4 a[24:27], v[20:21] offset:368
	;; [unrolled: 5-line block ×4, first 2 shown]
	v_lshrrev_b32_e32 v29, 8, v150
	v_accvgpr_write_b32 a47, v29
	s_nop 8
	flat_store_dwordx4 v[20:21], a[28:31] offset:288
	s_waitcnt vmcnt(0) lgkmcnt(0)
	v_mfma_f32_16x16x128_f8f6f4 a[32:35], a[0:7], v[48:55], a[32:35]
	flat_load_dwordx4 a[36:39], v[20:21] offset:320
	s_nop 10
	flat_store_dwordx4 v[20:21], a[32:35] offset:304
	s_waitcnt vmcnt(0) lgkmcnt(0)
	v_mfma_f32_16x16x128_f8f6f4 a[0:3], a[0:7], v[30:37], a[36:39]
	; sched_group_barrier mask(0x00000008) size(1) SyncID(0)
	; sched_group_barrier mask(0x00000020) size(1) SyncID(0)
	;; [unrolled: 1-line block ×12, first 2 shown]
	s_nop 11
	flat_store_dwordx4 v[20:21], a[0:3] offset:320
	flat_load_dwordx2 v[30:31], v[0:1] offset:1148
	flat_load_dwordx2 v[32:33], v[0:1] offset:1164
	flat_load_dwordx4 v[22:25], v[0:1] offset:1176
	flat_load_dwordx3 v[26:28], v[0:1] offset:1132
	flat_load_dwordx2 v[34:35], v[8:9] offset:16
	s_waitcnt vmcnt(0) lgkmcnt(0)
	v_sub_u32_e32 v29, v30, v33
	v_add_u32_e32 v25, 16, v25
	v_add_u32_e32 v22, v32, v22
	v_add3_u32 v23, v29, v23, s19
	v_sub_u32_e32 v30, v31, v32
	v_ashrrev_i32_e32 v29, 31, v25
	v_sub_u32_e32 v22, v31, v22
	v_ashrrev_i32_e32 v31, 31, v23
	v_sub_u32_e32 v28, v23, v28
	v_lshrrev_b32_e32 v29, 28, v29
	v_lshrrev_b32_e32 v31, 29, v31
	v_lshl_add_u32 v26, v28, 7, v26
	v_add_u32_e32 v28, v25, v29
	v_add_u32_e32 v29, v23, v31
	v_lshrrev_b32_e32 v31, 4, v28
	v_and_b32_e32 v29, -8, v29
	v_and_b32_e32 v28, -16, v28
	v_add_u32_e32 v22, v22, v31
	v_sub_u32_e32 v23, v23, v29
	v_sub_u32_e32 v25, v25, v28
	v_xor_b32_e32 v28, v23, v30
	v_xor_b32_e32 v22, v22, v23
	v_sub_u32_e32 v23, v28, v27
	v_sub_u32_e32 v27, v22, v27
	;; [unrolled: 1-line block ×3, first 2 shown]
	v_lshl_add_u32 v22, v23, 4, v26
	v_lshlrev_b32_e32 v26, 4, v27
	v_ashrrev_i32_e32 v23, 31, v22
	v_add3_u32 v24, v24, v25, v26
	v_lshl_add_u64 v[22:23], v[34:35], 0, v[22:23]
	v_ashrrev_i32_e32 v25, 31, v24
	flat_load_dwordx4 a[4:7], v[22:23]
	v_lshl_add_u64 v[22:23], v[34:35], 0, v[24:25]
	flat_load_dwordx4 a[8:11], v[22:23]
	v_mov_b32_e32 v24, v208
	;;#ASMSTART
	v_cvt_off_f32_i4 v25, v24
v_cvt_off_f32_i4 v26, v24, src0_sel:BYTE_2
v_cvt_pk_fp8_f32 v22, v25, v26
v_cvt_off_f32_i4 v25, v24, src0_sel:BYTE_1
v_cvt_off_f32_i4 v26, v24, src0_sel:BYTE_3
v_cvt_pk_fp8_f32 v23, v25, v26
v_lshrrev_b32 v27, 4, v24
v_cvt_off_f32_i4 v25, v27
v_cvt_off_f32_i4 v26, v27, src0_sel:BYTE_2
v_cvt_pk_fp8_f32 v22, v25, v26, op_sel:[0, 0, 1]
v_cvt_off_f32_i4 v25, v27, src0_sel:BYTE_1
v_cvt_off_f32_i4 v26, v27, src0_sel:BYTE_3
v_cvt_pk_fp8_f32 v23, v25, v26, op_sel:[0, 0, 1]

	;;#ASMEND
	s_nop 0
	v_mov_b32_e32 v26, v209
	;;#ASMSTART
	v_cvt_off_f32_i4 v27, v26
v_cvt_off_f32_i4 v28, v26, src0_sel:BYTE_2
v_cvt_pk_fp8_f32 v24, v27, v28
v_cvt_off_f32_i4 v27, v26, src0_sel:BYTE_1
v_cvt_off_f32_i4 v28, v26, src0_sel:BYTE_3
v_cvt_pk_fp8_f32 v25, v27, v28
v_lshrrev_b32 v29, 4, v26
v_cvt_off_f32_i4 v27, v29
v_cvt_off_f32_i4 v28, v29, src0_sel:BYTE_2
v_cvt_pk_fp8_f32 v24, v27, v28, op_sel:[0, 0, 1]
v_cvt_off_f32_i4 v27, v29, src0_sel:BYTE_1
v_cvt_off_f32_i4 v28, v29, src0_sel:BYTE_3
v_cvt_pk_fp8_f32 v25, v27, v28, op_sel:[0, 0, 1]

	;;#ASMEND
	s_nop 0
	;; [unrolled: 18-line block ×31, first 2 shown]
	v_mov_b32_e32 v38, v47
	;;#ASMSTART
	v_cvt_off_f32_i4 v39, v38
v_cvt_off_f32_i4 v56, v38, src0_sel:BYTE_2
v_cvt_pk_fp8_f32 v134, v39, v56
v_cvt_off_f32_i4 v39, v38, src0_sel:BYTE_1
v_cvt_off_f32_i4 v56, v38, src0_sel:BYTE_3
v_cvt_pk_fp8_f32 v135, v39, v56
v_lshrrev_b32 v57, 4, v38
v_cvt_off_f32_i4 v39, v57
v_cvt_off_f32_i4 v56, v57, src0_sel:BYTE_2
v_cvt_pk_fp8_f32 v134, v39, v56, op_sel:[0, 0, 1]
v_cvt_off_f32_i4 v39, v57, src0_sel:BYTE_1
v_cvt_off_f32_i4 v56, v57, src0_sel:BYTE_3
v_cvt_pk_fp8_f32 v135, v39, v56, op_sel:[0, 0, 1]

	;;#ASMEND
	; sched_barrier mask(0x00000000)
	flat_load_dwordx4 a[0:3], v[20:21] offset:384
	s_waitcnt vmcnt(0) lgkmcnt(0)
	v_mfma_f32_16x16x128_f8f6f4 a[0:3], a[4:11], v[22:29], a[0:3]
	s_nop 11
	flat_store_dwordx4 v[20:21], a[0:3] offset:384
	flat_load_dwordx4 a[0:3], v[20:21] offset:400
	s_waitcnt vmcnt(0) lgkmcnt(0)
	v_mfma_f32_16x16x128_f8f6f4 a[0:3], a[4:11], v[30:37], a[0:3]
	s_nop 11
	flat_store_dwordx4 v[20:21], a[0:3] offset:400
	;; [unrolled: 5-line block ×3, first 2 shown]
	flat_load_dwordx4 a[0:3], v[20:21] offset:432
	s_waitcnt vmcnt(0) lgkmcnt(0)
	v_mfma_f32_16x16x128_f8f6f4 a[0:3], a[4:11], v[64:71], a[0:3]
	; sched_group_barrier mask(0x00000008) size(4) SyncID(0)
	; sched_group_barrier mask(0x00000100) size(1) SyncID(0)
	s_nop 11
	flat_store_dwordx4 v[20:21], a[0:3] offset:432
	flat_load_dwordx4 a[0:3], v[20:21] offset:448
	s_waitcnt vmcnt(0) lgkmcnt(0)
	v_mfma_f32_16x16x128_f8f6f4 a[0:3], a[4:11], v[80:87], a[0:3]
	s_nop 11
	flat_store_dwordx4 v[20:21], a[0:3] offset:448
	flat_load_dwordx4 a[0:3], v[20:21] offset:464
	s_waitcnt vmcnt(0) lgkmcnt(0)
	v_mfma_f32_16x16x128_f8f6f4 a[0:3], a[4:11], v[96:103], a[0:3]
	;; [unrolled: 5-line block ×4, first 2 shown]
	; sched_group_barrier mask(0x00000008) size(4) SyncID(0)
	; sched_group_barrier mask(0x00000100) size(1) SyncID(0)
	s_nop 11
	flat_store_dwordx4 v[20:21], a[0:3] offset:496
	flat_load_dwordx2 v[30:31], v[0:1] offset:1148
	flat_load_dwordx2 v[32:33], v[0:1] offset:1164
	flat_load_dwordx4 v[22:25], v[0:1] offset:1176
	flat_load_dwordx3 v[26:28], v[0:1] offset:1132
	flat_load_dwordx2 v[34:35], v[8:9] offset:16
	s_waitcnt vmcnt(0) lgkmcnt(0)
	v_sub_u32_e32 v29, v30, v33
	v_add3_u32 v23, v29, v23, s20
	v_ashrrev_i32_e32 v30, 31, v23
	v_lshrrev_b32_e32 v30, 29, v30
	v_add_u32_e32 v30, v23, v30
	v_and_b32_e32 v30, -8, v30
	v_sub_u32_e32 v29, v31, v32
	v_sub_u32_e32 v30, v23, v30
	v_xor_b32_e32 v29, v30, v29
	v_sub_u32_e32 v23, v23, v28
	v_sub_u32_e32 v28, v29, v27
	v_lshl_add_u32 v23, v23, 7, v26
	v_add_u32_e32 v25, 16, v25
	v_lshl_add_u32 v28, v28, 4, v23
	v_ashrrev_i32_e32 v26, 31, v25
	v_ashrrev_i32_e32 v29, 31, v28
	v_lshrrev_b32_e32 v26, 28, v26
	v_lshl_add_u64 v[28:29], v[34:35], 0, v[28:29]
	v_add_u32_e32 v26, v25, v26
	v_add_u32_e32 v22, v32, v22
	flat_load_dwordx4 a[4:7], v[28:29]
	v_lshrrev_b32_e32 v28, 4, v26
	v_sub_u32_e32 v22, v31, v22
	v_add_u32_e32 v22, v22, v28
	v_xor_b32_e32 v22, v22, v30
	v_and_b32_e32 v26, -16, v26
	v_sub_u32_e32 v22, v22, v27
	v_sub_u32_e32 v25, v25, v26
	v_lshlrev_b32_e32 v22, 4, v22
	v_sub_u32_e32 v23, v23, v24
	v_add3_u32 v22, v23, v25, v22
	v_ashrrev_i32_e32 v23, 31, v22
	v_lshl_add_u64 v[22:23], v[34:35], 0, v[22:23]
	flat_load_dwordx4 a[8:11], v[22:23]
	v_mov_b32_e32 v24, v208
	;;#ASMSTART
	v_cvt_off_f32_i4 v25, v24
v_cvt_off_f32_i4 v26, v24, src0_sel:BYTE_2
v_cvt_pk_fp8_f32 v22, v25, v26
v_cvt_off_f32_i4 v25, v24, src0_sel:BYTE_1
v_cvt_off_f32_i4 v26, v24, src0_sel:BYTE_3
v_cvt_pk_fp8_f32 v23, v25, v26
v_lshrrev_b32 v27, 4, v24
v_cvt_off_f32_i4 v25, v27
v_cvt_off_f32_i4 v26, v27, src0_sel:BYTE_2
v_cvt_pk_fp8_f32 v22, v25, v26, op_sel:[0, 0, 1]
v_cvt_off_f32_i4 v25, v27, src0_sel:BYTE_1
v_cvt_off_f32_i4 v26, v27, src0_sel:BYTE_3
v_cvt_pk_fp8_f32 v23, v25, v26, op_sel:[0, 0, 1]

	;;#ASMEND
	s_nop 0
	v_mov_b32_e32 v26, v209
	;;#ASMSTART
	v_cvt_off_f32_i4 v27, v26
v_cvt_off_f32_i4 v28, v26, src0_sel:BYTE_2
v_cvt_pk_fp8_f32 v24, v27, v28
v_cvt_off_f32_i4 v27, v26, src0_sel:BYTE_1
v_cvt_off_f32_i4 v28, v26, src0_sel:BYTE_3
v_cvt_pk_fp8_f32 v25, v27, v28
v_lshrrev_b32 v29, 4, v26
v_cvt_off_f32_i4 v27, v29
v_cvt_off_f32_i4 v28, v29, src0_sel:BYTE_2
v_cvt_pk_fp8_f32 v24, v27, v28, op_sel:[0, 0, 1]
v_cvt_off_f32_i4 v27, v29, src0_sel:BYTE_1
v_cvt_off_f32_i4 v28, v29, src0_sel:BYTE_3
v_cvt_pk_fp8_f32 v25, v27, v28, op_sel:[0, 0, 1]

	;;#ASMEND
	s_nop 0
	;; [unrolled: 18-line block ×31, first 2 shown]
	v_mov_b32_e32 v38, v47
	;;#ASMSTART
	v_cvt_off_f32_i4 v39, v38
v_cvt_off_f32_i4 v56, v38, src0_sel:BYTE_2
v_cvt_pk_fp8_f32 v134, v39, v56
v_cvt_off_f32_i4 v39, v38, src0_sel:BYTE_1
v_cvt_off_f32_i4 v56, v38, src0_sel:BYTE_3
v_cvt_pk_fp8_f32 v135, v39, v56
v_lshrrev_b32 v57, 4, v38
v_cvt_off_f32_i4 v39, v57
v_cvt_off_f32_i4 v56, v57, src0_sel:BYTE_2
v_cvt_pk_fp8_f32 v134, v39, v56, op_sel:[0, 0, 1]
v_cvt_off_f32_i4 v39, v57, src0_sel:BYTE_1
v_cvt_off_f32_i4 v56, v57, src0_sel:BYTE_3
v_cvt_pk_fp8_f32 v135, v39, v56, op_sel:[0, 0, 1]

	;;#ASMEND
	; sched_barrier mask(0x00000000)
	flat_load_dwordx4 a[0:3], v[20:21] offset:512
	s_waitcnt vmcnt(0) lgkmcnt(0)
	v_mfma_f32_16x16x128_f8f6f4 a[0:3], a[4:11], v[22:29], a[0:3]
	s_nop 11
	flat_store_dwordx4 v[20:21], a[0:3] offset:512
	flat_load_dwordx4 a[0:3], v[20:21] offset:528
	s_waitcnt vmcnt(0) lgkmcnt(0)
	v_mfma_f32_16x16x128_f8f6f4 a[0:3], a[4:11], v[30:37], a[0:3]
	s_nop 11
	flat_store_dwordx4 v[20:21], a[0:3] offset:528
	;; [unrolled: 5-line block ×3, first 2 shown]
	flat_load_dwordx4 a[0:3], v[20:21] offset:560
	s_waitcnt vmcnt(0) lgkmcnt(0)
	v_mfma_f32_16x16x128_f8f6f4 a[0:3], a[4:11], v[64:71], a[0:3]
	; sched_group_barrier mask(0x00000008) size(4) SyncID(0)
	; sched_group_barrier mask(0x00000100) size(1) SyncID(0)
	s_nop 11
	flat_store_dwordx4 v[20:21], a[0:3] offset:560
	flat_load_dwordx4 a[0:3], v[20:21] offset:576
	s_waitcnt vmcnt(0) lgkmcnt(0)
	v_mfma_f32_16x16x128_f8f6f4 a[0:3], a[4:11], v[80:87], a[0:3]
	s_nop 11
	flat_store_dwordx4 v[20:21], a[0:3] offset:576
	flat_load_dwordx4 a[0:3], v[20:21] offset:592
	s_waitcnt vmcnt(0) lgkmcnt(0)
	v_mfma_f32_16x16x128_f8f6f4 a[0:3], a[4:11], v[96:103], a[0:3]
	;; [unrolled: 5-line block ×4, first 2 shown]
	; sched_group_barrier mask(0x00000008) size(4) SyncID(0)
	; sched_group_barrier mask(0x00000100) size(1) SyncID(0)
	s_nop 11
	flat_store_dwordx4 v[20:21], a[0:3] offset:624
	flat_load_dwordx2 v[30:31], v[0:1] offset:1148
	flat_load_dwordx2 v[32:33], v[0:1] offset:1164
	flat_load_dwordx4 v[22:25], v[0:1] offset:1176
	flat_load_dwordx3 v[26:28], v[0:1] offset:1132
	flat_load_dwordx2 v[34:35], v[8:9] offset:16
	s_waitcnt vmcnt(0) lgkmcnt(0)
	v_sub_u32_e32 v29, v30, v33
	v_add3_u32 v23, v29, v23, s21
	v_ashrrev_i32_e32 v30, 31, v23
	v_lshrrev_b32_e32 v30, 29, v30
	v_add_u32_e32 v30, v23, v30
	v_and_b32_e32 v30, -8, v30
	v_sub_u32_e32 v29, v31, v32
	v_sub_u32_e32 v30, v23, v30
	v_xor_b32_e32 v29, v30, v29
	v_sub_u32_e32 v23, v23, v28
	v_sub_u32_e32 v28, v29, v27
	v_lshl_add_u32 v23, v23, 7, v26
	v_add_u32_e32 v25, 16, v25
	v_lshl_add_u32 v28, v28, 4, v23
	v_ashrrev_i32_e32 v26, 31, v25
	v_ashrrev_i32_e32 v29, 31, v28
	v_lshrrev_b32_e32 v26, 28, v26
	v_lshl_add_u64 v[28:29], v[34:35], 0, v[28:29]
	v_add_u32_e32 v26, v25, v26
	v_add_u32_e32 v22, v32, v22
	flat_load_dwordx4 a[4:7], v[28:29]
	v_lshrrev_b32_e32 v28, 4, v26
	v_sub_u32_e32 v22, v31, v22
	v_add_u32_e32 v22, v22, v28
	v_xor_b32_e32 v22, v22, v30
	v_and_b32_e32 v26, -16, v26
	v_sub_u32_e32 v22, v22, v27
	v_sub_u32_e32 v25, v25, v26
	v_lshlrev_b32_e32 v22, 4, v22
	v_sub_u32_e32 v23, v23, v24
	v_add3_u32 v22, v23, v25, v22
	v_ashrrev_i32_e32 v23, 31, v22
	v_lshl_add_u64 v[22:23], v[34:35], 0, v[22:23]
	flat_load_dwordx4 a[8:11], v[22:23]
	v_mov_b32_e32 v24, v208
	;;#ASMSTART
	v_cvt_off_f32_i4 v25, v24
v_cvt_off_f32_i4 v26, v24, src0_sel:BYTE_2
v_cvt_pk_fp8_f32 v22, v25, v26
v_cvt_off_f32_i4 v25, v24, src0_sel:BYTE_1
v_cvt_off_f32_i4 v26, v24, src0_sel:BYTE_3
v_cvt_pk_fp8_f32 v23, v25, v26
v_lshrrev_b32 v27, 4, v24
v_cvt_off_f32_i4 v25, v27
v_cvt_off_f32_i4 v26, v27, src0_sel:BYTE_2
v_cvt_pk_fp8_f32 v22, v25, v26, op_sel:[0, 0, 1]
v_cvt_off_f32_i4 v25, v27, src0_sel:BYTE_1
v_cvt_off_f32_i4 v26, v27, src0_sel:BYTE_3
v_cvt_pk_fp8_f32 v23, v25, v26, op_sel:[0, 0, 1]

	;;#ASMEND
	s_nop 0
	v_mov_b32_e32 v26, v209
	;;#ASMSTART
	v_cvt_off_f32_i4 v27, v26
v_cvt_off_f32_i4 v28, v26, src0_sel:BYTE_2
v_cvt_pk_fp8_f32 v24, v27, v28
v_cvt_off_f32_i4 v27, v26, src0_sel:BYTE_1
v_cvt_off_f32_i4 v28, v26, src0_sel:BYTE_3
v_cvt_pk_fp8_f32 v25, v27, v28
v_lshrrev_b32 v29, 4, v26
v_cvt_off_f32_i4 v27, v29
v_cvt_off_f32_i4 v28, v29, src0_sel:BYTE_2
v_cvt_pk_fp8_f32 v24, v27, v28, op_sel:[0, 0, 1]
v_cvt_off_f32_i4 v27, v29, src0_sel:BYTE_1
v_cvt_off_f32_i4 v28, v29, src0_sel:BYTE_3
v_cvt_pk_fp8_f32 v25, v27, v28, op_sel:[0, 0, 1]

	;;#ASMEND
	s_nop 0
	;; [unrolled: 18-line block ×31, first 2 shown]
	v_mov_b32_e32 v38, v47
	;;#ASMSTART
	v_cvt_off_f32_i4 v39, v38
v_cvt_off_f32_i4 v56, v38, src0_sel:BYTE_2
v_cvt_pk_fp8_f32 v134, v39, v56
v_cvt_off_f32_i4 v39, v38, src0_sel:BYTE_1
v_cvt_off_f32_i4 v56, v38, src0_sel:BYTE_3
v_cvt_pk_fp8_f32 v135, v39, v56
v_lshrrev_b32 v57, 4, v38
v_cvt_off_f32_i4 v39, v57
v_cvt_off_f32_i4 v56, v57, src0_sel:BYTE_2
v_cvt_pk_fp8_f32 v134, v39, v56, op_sel:[0, 0, 1]
v_cvt_off_f32_i4 v39, v57, src0_sel:BYTE_1
v_cvt_off_f32_i4 v56, v57, src0_sel:BYTE_3
v_cvt_pk_fp8_f32 v135, v39, v56, op_sel:[0, 0, 1]

	;;#ASMEND
	; sched_barrier mask(0x00000000)
	flat_load_dwordx4 a[0:3], v[20:21] offset:640
	s_waitcnt vmcnt(0) lgkmcnt(0)
	v_mfma_f32_16x16x128_f8f6f4 a[0:3], a[4:11], v[22:29], a[0:3]
	s_nop 11
	flat_store_dwordx4 v[20:21], a[0:3] offset:640
	flat_load_dwordx4 a[0:3], v[20:21] offset:656
	s_waitcnt vmcnt(0) lgkmcnt(0)
	v_mfma_f32_16x16x128_f8f6f4 a[0:3], a[4:11], v[30:37], a[0:3]
	s_nop 11
	flat_store_dwordx4 v[20:21], a[0:3] offset:656
	;; [unrolled: 5-line block ×3, first 2 shown]
	flat_load_dwordx4 a[0:3], v[20:21] offset:688
	s_waitcnt vmcnt(0) lgkmcnt(0)
	v_mfma_f32_16x16x128_f8f6f4 a[0:3], a[4:11], v[64:71], a[0:3]
	; sched_group_barrier mask(0x00000008) size(4) SyncID(0)
	; sched_group_barrier mask(0x00000100) size(1) SyncID(0)
	s_nop 11
	flat_store_dwordx4 v[20:21], a[0:3] offset:688
	flat_load_dwordx4 a[0:3], v[20:21] offset:704
	s_waitcnt vmcnt(0) lgkmcnt(0)
	v_mfma_f32_16x16x128_f8f6f4 a[0:3], a[4:11], v[80:87], a[0:3]
	s_nop 11
	flat_store_dwordx4 v[20:21], a[0:3] offset:704
	flat_load_dwordx4 a[0:3], v[20:21] offset:720
	s_waitcnt vmcnt(0) lgkmcnt(0)
	v_mfma_f32_16x16x128_f8f6f4 a[0:3], a[4:11], v[96:103], a[0:3]
	;; [unrolled: 5-line block ×4, first 2 shown]
	; sched_group_barrier mask(0x00000008) size(4) SyncID(0)
	; sched_group_barrier mask(0x00000100) size(1) SyncID(0)
	s_nop 11
	flat_store_dwordx4 v[20:21], a[0:3] offset:752
	flat_load_dwordx2 v[30:31], v[0:1] offset:1148
	flat_load_dwordx2 v[32:33], v[0:1] offset:1164
	flat_load_dwordx4 v[22:25], v[0:1] offset:1176
	flat_load_dwordx3 v[26:28], v[0:1] offset:1132
	flat_load_dwordx2 v[34:35], v[8:9] offset:16
	s_waitcnt vmcnt(0) lgkmcnt(0)
	v_sub_u32_e32 v29, v30, v33
	v_add3_u32 v23, v29, v23, s22
	v_ashrrev_i32_e32 v30, 31, v23
	v_lshrrev_b32_e32 v30, 29, v30
	v_add_u32_e32 v30, v23, v30
	v_and_b32_e32 v30, -8, v30
	v_sub_u32_e32 v29, v31, v32
	v_sub_u32_e32 v30, v23, v30
	v_xor_b32_e32 v29, v30, v29
	v_sub_u32_e32 v23, v23, v28
	v_sub_u32_e32 v28, v29, v27
	v_lshl_add_u32 v23, v23, 7, v26
	v_add_u32_e32 v25, 16, v25
	v_lshl_add_u32 v28, v28, 4, v23
	v_ashrrev_i32_e32 v26, 31, v25
	v_ashrrev_i32_e32 v29, 31, v28
	v_lshrrev_b32_e32 v26, 28, v26
	v_lshl_add_u64 v[28:29], v[34:35], 0, v[28:29]
	v_add_u32_e32 v26, v25, v26
	v_add_u32_e32 v22, v32, v22
	flat_load_dwordx4 a[4:7], v[28:29]
	v_lshrrev_b32_e32 v28, 4, v26
	v_sub_u32_e32 v22, v31, v22
	v_add_u32_e32 v22, v22, v28
	v_xor_b32_e32 v22, v22, v30
	v_and_b32_e32 v26, -16, v26
	v_sub_u32_e32 v22, v22, v27
	v_sub_u32_e32 v25, v25, v26
	v_lshlrev_b32_e32 v22, 4, v22
	v_sub_u32_e32 v23, v23, v24
	v_add3_u32 v22, v23, v25, v22
	v_ashrrev_i32_e32 v23, 31, v22
	v_lshl_add_u64 v[22:23], v[34:35], 0, v[22:23]
	flat_load_dwordx4 a[8:11], v[22:23]
	v_mov_b32_e32 v24, v208
	;;#ASMSTART
	v_cvt_off_f32_i4 v25, v24
v_cvt_off_f32_i4 v26, v24, src0_sel:BYTE_2
v_cvt_pk_fp8_f32 v22, v25, v26
v_cvt_off_f32_i4 v25, v24, src0_sel:BYTE_1
v_cvt_off_f32_i4 v26, v24, src0_sel:BYTE_3
v_cvt_pk_fp8_f32 v23, v25, v26
v_lshrrev_b32 v27, 4, v24
v_cvt_off_f32_i4 v25, v27
v_cvt_off_f32_i4 v26, v27, src0_sel:BYTE_2
v_cvt_pk_fp8_f32 v22, v25, v26, op_sel:[0, 0, 1]
v_cvt_off_f32_i4 v25, v27, src0_sel:BYTE_1
v_cvt_off_f32_i4 v26, v27, src0_sel:BYTE_3
v_cvt_pk_fp8_f32 v23, v25, v26, op_sel:[0, 0, 1]

	;;#ASMEND
	s_nop 0
	v_mov_b32_e32 v26, v209
	;;#ASMSTART
	v_cvt_off_f32_i4 v27, v26
v_cvt_off_f32_i4 v28, v26, src0_sel:BYTE_2
v_cvt_pk_fp8_f32 v24, v27, v28
v_cvt_off_f32_i4 v27, v26, src0_sel:BYTE_1
v_cvt_off_f32_i4 v28, v26, src0_sel:BYTE_3
v_cvt_pk_fp8_f32 v25, v27, v28
v_lshrrev_b32 v29, 4, v26
v_cvt_off_f32_i4 v27, v29
v_cvt_off_f32_i4 v28, v29, src0_sel:BYTE_2
v_cvt_pk_fp8_f32 v24, v27, v28, op_sel:[0, 0, 1]
v_cvt_off_f32_i4 v27, v29, src0_sel:BYTE_1
v_cvt_off_f32_i4 v28, v29, src0_sel:BYTE_3
v_cvt_pk_fp8_f32 v25, v27, v28, op_sel:[0, 0, 1]

	;;#ASMEND
	s_nop 0
	;; [unrolled: 18-line block ×31, first 2 shown]
	v_mov_b32_e32 v38, v47
	;;#ASMSTART
	v_cvt_off_f32_i4 v39, v38
v_cvt_off_f32_i4 v56, v38, src0_sel:BYTE_2
v_cvt_pk_fp8_f32 v134, v39, v56
v_cvt_off_f32_i4 v39, v38, src0_sel:BYTE_1
v_cvt_off_f32_i4 v56, v38, src0_sel:BYTE_3
v_cvt_pk_fp8_f32 v135, v39, v56
v_lshrrev_b32 v57, 4, v38
v_cvt_off_f32_i4 v39, v57
v_cvt_off_f32_i4 v56, v57, src0_sel:BYTE_2
v_cvt_pk_fp8_f32 v134, v39, v56, op_sel:[0, 0, 1]
v_cvt_off_f32_i4 v39, v57, src0_sel:BYTE_1
v_cvt_off_f32_i4 v56, v57, src0_sel:BYTE_3
v_cvt_pk_fp8_f32 v135, v39, v56, op_sel:[0, 0, 1]

	;;#ASMEND
	; sched_barrier mask(0x00000000)
	flat_load_dwordx4 a[0:3], v[20:21] offset:768
	s_waitcnt vmcnt(0) lgkmcnt(0)
	v_mfma_f32_16x16x128_f8f6f4 a[0:3], a[4:11], v[22:29], a[0:3]
	s_nop 11
	flat_store_dwordx4 v[20:21], a[0:3] offset:768
	flat_load_dwordx4 a[0:3], v[20:21] offset:784
	s_waitcnt vmcnt(0) lgkmcnt(0)
	v_mfma_f32_16x16x128_f8f6f4 a[0:3], a[4:11], v[30:37], a[0:3]
	s_nop 11
	flat_store_dwordx4 v[20:21], a[0:3] offset:784
	;; [unrolled: 5-line block ×3, first 2 shown]
	flat_load_dwordx4 a[0:3], v[20:21] offset:816
	s_waitcnt vmcnt(0) lgkmcnt(0)
	v_mfma_f32_16x16x128_f8f6f4 a[0:3], a[4:11], v[64:71], a[0:3]
	; sched_group_barrier mask(0x00000008) size(4) SyncID(0)
	; sched_group_barrier mask(0x00000100) size(1) SyncID(0)
	s_nop 11
	flat_store_dwordx4 v[20:21], a[0:3] offset:816
	flat_load_dwordx4 a[0:3], v[20:21] offset:832
	s_waitcnt vmcnt(0) lgkmcnt(0)
	v_mfma_f32_16x16x128_f8f6f4 a[0:3], a[4:11], v[80:87], a[0:3]
	s_nop 11
	flat_store_dwordx4 v[20:21], a[0:3] offset:832
	flat_load_dwordx4 a[0:3], v[20:21] offset:848
	s_waitcnt vmcnt(0) lgkmcnt(0)
	v_mfma_f32_16x16x128_f8f6f4 a[0:3], a[4:11], v[96:103], a[0:3]
	;; [unrolled: 5-line block ×4, first 2 shown]
	; sched_group_barrier mask(0x00000008) size(4) SyncID(0)
	; sched_group_barrier mask(0x00000100) size(1) SyncID(0)
	s_nop 11
	flat_store_dwordx4 v[20:21], a[0:3] offset:880
	flat_load_dwordx2 v[30:31], v[0:1] offset:1148
	flat_load_dwordx2 v[32:33], v[0:1] offset:1164
	flat_load_dwordx4 v[22:25], v[0:1] offset:1176
	flat_load_dwordx3 v[26:28], v[0:1] offset:1132
	flat_load_dwordx2 v[34:35], v[8:9] offset:16
	s_waitcnt vmcnt(0) lgkmcnt(0)
	v_sub_u32_e32 v29, v30, v33
	v_add3_u32 v23, v29, v23, s23
	v_ashrrev_i32_e32 v30, 31, v23
	v_lshrrev_b32_e32 v30, 29, v30
	v_add_u32_e32 v30, v23, v30
	v_and_b32_e32 v30, -8, v30
	v_sub_u32_e32 v29, v31, v32
	v_sub_u32_e32 v30, v23, v30
	v_xor_b32_e32 v29, v30, v29
	v_sub_u32_e32 v23, v23, v28
	v_sub_u32_e32 v28, v29, v27
	v_lshl_add_u32 v23, v23, 7, v26
	v_add_u32_e32 v25, 16, v25
	v_lshl_add_u32 v28, v28, 4, v23
	v_ashrrev_i32_e32 v26, 31, v25
	v_ashrrev_i32_e32 v29, 31, v28
	v_lshrrev_b32_e32 v26, 28, v26
	v_lshl_add_u64 v[28:29], v[34:35], 0, v[28:29]
	v_add_u32_e32 v26, v25, v26
	v_add_u32_e32 v22, v32, v22
	flat_load_dwordx4 a[32:35], v[28:29]
	v_lshrrev_b32_e32 v28, 4, v26
	v_sub_u32_e32 v22, v31, v22
	v_add_u32_e32 v22, v22, v28
	v_xor_b32_e32 v22, v22, v30
	v_and_b32_e32 v26, -16, v26
	v_sub_u32_e32 v22, v22, v27
	v_sub_u32_e32 v25, v25, v26
	v_lshlrev_b32_e32 v22, 4, v22
	v_sub_u32_e32 v23, v23, v24
	v_add3_u32 v22, v23, v25, v22
	v_ashrrev_i32_e32 v23, 31, v22
	v_lshl_add_u64 v[22:23], v[34:35], 0, v[22:23]
	flat_load_dwordx4 a[36:39], v[22:23]
	;;#ASMSTART
	v_cvt_off_f32_i4 v24, v208
v_cvt_off_f32_i4 v25, v208, src0_sel:BYTE_2
v_cvt_pk_fp8_f32 v22, v24, v25
v_cvt_off_f32_i4 v24, v208, src0_sel:BYTE_1
v_cvt_off_f32_i4 v25, v208, src0_sel:BYTE_3
v_cvt_pk_fp8_f32 v23, v24, v25
v_lshrrev_b32 v26, 4, v208
v_cvt_off_f32_i4 v24, v26
v_cvt_off_f32_i4 v25, v26, src0_sel:BYTE_2
v_cvt_pk_fp8_f32 v22, v24, v25, op_sel:[0, 0, 1]
v_cvt_off_f32_i4 v24, v26, src0_sel:BYTE_1
v_cvt_off_f32_i4 v25, v26, src0_sel:BYTE_3
v_cvt_pk_fp8_f32 v23, v24, v25, op_sel:[0, 0, 1]

	;;#ASMEND
	s_nop 0
	;;#ASMSTART
	v_cvt_off_f32_i4 v26, v209
v_cvt_off_f32_i4 v27, v209, src0_sel:BYTE_2
v_cvt_pk_fp8_f32 v24, v26, v27
v_cvt_off_f32_i4 v26, v209, src0_sel:BYTE_1
v_cvt_off_f32_i4 v27, v209, src0_sel:BYTE_3
v_cvt_pk_fp8_f32 v25, v26, v27
v_lshrrev_b32 v28, 4, v209
v_cvt_off_f32_i4 v26, v28
v_cvt_off_f32_i4 v27, v28, src0_sel:BYTE_2
v_cvt_pk_fp8_f32 v24, v26, v27, op_sel:[0, 0, 1]
v_cvt_off_f32_i4 v26, v28, src0_sel:BYTE_1
v_cvt_off_f32_i4 v27, v28, src0_sel:BYTE_3
v_cvt_pk_fp8_f32 v25, v26, v27, op_sel:[0, 0, 1]

	;;#ASMEND
	s_nop 0
	;; [unrolled: 17-line block ×31, first 2 shown]
	;;#ASMSTART
	v_cvt_off_f32_i4 v38, v47
v_cvt_off_f32_i4 v39, v47, src0_sel:BYTE_2
v_cvt_pk_fp8_f32 v134, v38, v39
v_cvt_off_f32_i4 v38, v47, src0_sel:BYTE_1
v_cvt_off_f32_i4 v39, v47, src0_sel:BYTE_3
v_cvt_pk_fp8_f32 v135, v38, v39
v_lshrrev_b32 v208, 4, v47
v_cvt_off_f32_i4 v38, v208
v_cvt_off_f32_i4 v39, v208, src0_sel:BYTE_2
v_cvt_pk_fp8_f32 v134, v38, v39, op_sel:[0, 0, 1]
v_cvt_off_f32_i4 v38, v208, src0_sel:BYTE_1
v_cvt_off_f32_i4 v39, v208, src0_sel:BYTE_3
v_cvt_pk_fp8_f32 v135, v38, v39, op_sel:[0, 0, 1]

	;;#ASMEND
	; sched_barrier mask(0x00000000)
	flat_load_dwordx4 a[0:3], v[20:21] offset:896
	flat_load_dwordx4 a[4:7], v[20:21] offset:912
	;; [unrolled: 1-line block ×8, first 2 shown]
	v_perm_b32 v208, v183, v183, s16
	v_perm_b32 v209, v179, v179, s16
	;; [unrolled: 1-line block ×6, first 2 shown]
	s_waitcnt vmcnt(0) lgkmcnt(0)
	v_mfma_f32_16x16x128_f8f6f4 a[0:3], a[32:39], v[22:29], a[0:3]
	s_nop 11
	flat_store_dwordx4 v[20:21], a[0:3] offset:896
	v_mfma_f32_16x16x128_f8f6f4 a[4:7], a[32:39], v[30:37], a[4:7]
	v_mfma_f32_16x16x128_f8f6f4 a[8:11], a[32:39], v[48:55], a[8:11]
	s_nop 10
	flat_store_dwordx4 v[20:21], a[4:7] offset:912
	v_mfma_f32_16x16x128_f8f6f4 a[12:15], a[32:39], v[64:71], a[12:15]
	; sched_group_barrier mask(0x00000008) size(4) SyncID(0)
	; sched_group_barrier mask(0x00000100) size(1) SyncID(0)
	flat_store_dwordx4 v[20:21], a[8:11] offset:928
	v_mfma_f32_16x16x128_f8f6f4 a[16:19], a[32:39], v[80:87], a[16:19]
	s_nop 9
	flat_store_dwordx4 v[20:21], a[12:15] offset:944
	v_mfma_f32_16x16x128_f8f6f4 a[20:23], a[32:39], v[96:103], a[20:23]
	flat_store_dwordx4 v[20:21], a[16:19] offset:960
	v_mfma_f32_16x16x128_f8f6f4 a[24:27], a[32:39], v[112:119], a[24:27]
	s_nop 9
	flat_store_dwordx4 v[20:21], a[20:23] offset:976
	v_mfma_f32_16x16x128_f8f6f4 a[28:31], a[32:39], v[128:135], a[28:31]
	; sched_group_barrier mask(0x00000008) size(4) SyncID(0)
	; sched_group_barrier mask(0x00000100) size(1) SyncID(0)
	flat_store_dwordx4 v[20:21], a[24:27] offset:992
	s_nop 10
	flat_store_dwordx4 v[20:21], a[28:31] offset:1008
	s_waitcnt lgkmcnt(0)
	s_barrier
	flat_load_dwordx4 v[22:25], v[0:1] offset:1152
	flat_load_dwordx3 v[26:28], v[0:1] offset:1132
	s_waitcnt vmcnt(0) lgkmcnt(0)
	flat_load_dwordx2 v[24:25], v[0:1] offset:1184
	flat_load_dword v29, v[0:1] offset:1176
	s_waitcnt vmcnt(0) lgkmcnt(0)
	flat_load_dword v24, v[0:1] offset:1148
	flat_load_dwordx2 v[30:31], v[8:9]
	flat_load_dword v34, v[0:1] offset:1184
	v_ashrrev_i32_e32 v33, 31, v26
	v_mov_b32_e32 v32, v26
	v_add_u32_e32 v25, 16, v25
	v_sub_u32_e32 v29, v22, v29
	s_waitcnt vmcnt(0) lgkmcnt(0)
	v_ashrrev_i32_e32 v35, 31, v24
	v_lshl_add_u64 v[22:23], v[30:31], 0, v[32:33]
	v_ashrrev_i32_e32 v32, 31, v25
	v_lshrrev_b32_e32 v33, 29, v35
	flat_load_dwordx4 a[0:3], v[22:23]
	v_lshrrev_b32_e32 v22, 28, v32
	v_sub_u32_e32 v28, v24, v28
	v_add_u32_e32 v23, v24, v33
	v_add_u32_e32 v22, v25, v22
	v_lshl_add_u32 v26, v28, 7, v26
	v_and_b32_e32 v23, 0xffffff8, v23
	v_lshrrev_b32_e32 v28, 4, v22
	v_sub_u32_e32 v23, v24, v23
	v_add_u32_e32 v24, v29, v28
	v_xor_b32_e32 v23, v24, v23
	v_and_b32_e32 v22, -16, v22
	v_sub_u32_e32 v23, v23, v27
	v_sub_u32_e32 v22, v25, v22
	v_lshlrev_b32_e32 v23, 4, v23
	v_sub_u32_e32 v24, v26, v34
	v_add3_u32 v22, v24, v22, v23
	v_ashrrev_i32_e32 v23, 31, v22
	v_lshl_add_u64 v[22:23], v[30:31], 0, v[22:23]
	flat_load_dwordx4 a[4:7], v[22:23]
	v_mov_b32_e32 v23, v196
	;;#ASMSTART
	v_cvt_off_f32_i4 v26, v23
v_cvt_off_f32_i4 v27, v23, src0_sel:BYTE_2
v_cvt_pk_fp8_f32 v24, v26, v27
v_cvt_off_f32_i4 v26, v23, src0_sel:BYTE_1
v_cvt_off_f32_i4 v27, v23, src0_sel:BYTE_3
v_cvt_pk_fp8_f32 v25, v26, v27
v_lshrrev_b32 v28, 4, v23
v_cvt_off_f32_i4 v26, v28
v_cvt_off_f32_i4 v27, v28, src0_sel:BYTE_2
v_cvt_pk_fp8_f32 v24, v26, v27, op_sel:[0, 0, 1]
v_cvt_off_f32_i4 v26, v28, src0_sel:BYTE_1
v_cvt_off_f32_i4 v27, v28, src0_sel:BYTE_3
v_cvt_pk_fp8_f32 v25, v26, v27, op_sel:[0, 0, 1]

	;;#ASMEND
	v_perm_b32 v22, v199, v199, s16
	v_mov_b32_e32 v23, v197
	;;#ASMSTART
	v_cvt_off_f32_i4 v28, v23
v_cvt_off_f32_i4 v29, v23, src0_sel:BYTE_2
v_cvt_pk_fp8_f32 v26, v28, v29
v_cvt_off_f32_i4 v28, v23, src0_sel:BYTE_1
v_cvt_off_f32_i4 v29, v23, src0_sel:BYTE_3
v_cvt_pk_fp8_f32 v27, v28, v29
v_lshrrev_b32 v30, 4, v23
v_cvt_off_f32_i4 v28, v30
v_cvt_off_f32_i4 v29, v30, src0_sel:BYTE_2
v_cvt_pk_fp8_f32 v26, v28, v29, op_sel:[0, 0, 1]
v_cvt_off_f32_i4 v28, v30, src0_sel:BYTE_1
v_cvt_off_f32_i4 v29, v30, src0_sel:BYTE_3
v_cvt_pk_fp8_f32 v27, v28, v29, op_sel:[0, 0, 1]

	;;#ASMEND
	s_nop 0
	v_mov_b32_e32 v23, v198
	;;#ASMSTART
	v_cvt_off_f32_i4 v30, v23
v_cvt_off_f32_i4 v31, v23, src0_sel:BYTE_2
v_cvt_pk_fp8_f32 v28, v30, v31
v_cvt_off_f32_i4 v30, v23, src0_sel:BYTE_1
v_cvt_off_f32_i4 v31, v23, src0_sel:BYTE_3
v_cvt_pk_fp8_f32 v29, v30, v31
v_lshrrev_b32 v32, 4, v23
v_cvt_off_f32_i4 v30, v32
v_cvt_off_f32_i4 v31, v32, src0_sel:BYTE_2
v_cvt_pk_fp8_f32 v28, v30, v31, op_sel:[0, 0, 1]
v_cvt_off_f32_i4 v30, v32, src0_sel:BYTE_1
v_cvt_off_f32_i4 v31, v32, src0_sel:BYTE_3
v_cvt_pk_fp8_f32 v29, v30, v31, op_sel:[0, 0, 1]

	;;#ASMEND
	s_nop 0
	;; [unrolled: 18-line block ×3, first 2 shown]
	v_mov_b32_e32 v32, v192
	;;#ASMSTART
	v_cvt_off_f32_i4 v33, v32
v_cvt_off_f32_i4 v34, v32, src0_sel:BYTE_2
v_cvt_pk_fp8_f32 v48, v33, v34
v_cvt_off_f32_i4 v33, v32, src0_sel:BYTE_1
v_cvt_off_f32_i4 v34, v32, src0_sel:BYTE_3
v_cvt_pk_fp8_f32 v49, v33, v34
v_lshrrev_b32 v35, 4, v32
v_cvt_off_f32_i4 v33, v35
v_cvt_off_f32_i4 v34, v35, src0_sel:BYTE_2
v_cvt_pk_fp8_f32 v48, v33, v34, op_sel:[0, 0, 1]
v_cvt_off_f32_i4 v33, v35, src0_sel:BYTE_1
v_cvt_off_f32_i4 v34, v35, src0_sel:BYTE_3
v_cvt_pk_fp8_f32 v49, v33, v34, op_sel:[0, 0, 1]

	;;#ASMEND
	v_perm_b32 v23, v195, v195, s16
	v_mov_b32_e32 v32, v193
	;;#ASMSTART
	v_cvt_off_f32_i4 v33, v32
v_cvt_off_f32_i4 v34, v32, src0_sel:BYTE_2
v_cvt_pk_fp8_f32 v50, v33, v34
v_cvt_off_f32_i4 v33, v32, src0_sel:BYTE_1
v_cvt_off_f32_i4 v34, v32, src0_sel:BYTE_3
v_cvt_pk_fp8_f32 v51, v33, v34
v_lshrrev_b32 v35, 4, v32
v_cvt_off_f32_i4 v33, v35
v_cvt_off_f32_i4 v34, v35, src0_sel:BYTE_2
v_cvt_pk_fp8_f32 v50, v33, v34, op_sel:[0, 0, 1]
v_cvt_off_f32_i4 v33, v35, src0_sel:BYTE_1
v_cvt_off_f32_i4 v34, v35, src0_sel:BYTE_3
v_cvt_pk_fp8_f32 v51, v33, v34, op_sel:[0, 0, 1]

	;;#ASMEND
	s_nop 0
	v_mov_b32_e32 v32, v194
	;;#ASMSTART
	v_cvt_off_f32_i4 v33, v32
v_cvt_off_f32_i4 v34, v32, src0_sel:BYTE_2
v_cvt_pk_fp8_f32 v52, v33, v34
v_cvt_off_f32_i4 v33, v32, src0_sel:BYTE_1
v_cvt_off_f32_i4 v34, v32, src0_sel:BYTE_3
v_cvt_pk_fp8_f32 v53, v33, v34
v_lshrrev_b32 v35, 4, v32
v_cvt_off_f32_i4 v33, v35
v_cvt_off_f32_i4 v34, v35, src0_sel:BYTE_2
v_cvt_pk_fp8_f32 v52, v33, v34, op_sel:[0, 0, 1]
v_cvt_off_f32_i4 v33, v35, src0_sel:BYTE_1
v_cvt_off_f32_i4 v34, v35, src0_sel:BYTE_3
v_cvt_pk_fp8_f32 v53, v33, v34, op_sel:[0, 0, 1]

	;;#ASMEND
	s_nop 0
	;; [unrolled: 18-line block ×26, first 2 shown]
	v_mov_b32_e32 v214, v213
	;;#ASMSTART
	v_cvt_off_f32_i4 v215, v214
v_cvt_off_f32_i4 v224, v214, src0_sel:BYTE_2
v_cvt_pk_fp8_f32 v38, v215, v224
v_cvt_off_f32_i4 v215, v214, src0_sel:BYTE_1
v_cvt_off_f32_i4 v224, v214, src0_sel:BYTE_3
v_cvt_pk_fp8_f32 v39, v215, v224
v_lshrrev_b32 v225, 4, v214
v_cvt_off_f32_i4 v215, v225
v_cvt_off_f32_i4 v224, v225, src0_sel:BYTE_2
v_cvt_pk_fp8_f32 v38, v215, v224, op_sel:[0, 0, 1]
v_cvt_off_f32_i4 v215, v225, src0_sel:BYTE_1
v_cvt_off_f32_i4 v224, v225, src0_sel:BYTE_3
v_cvt_pk_fp8_f32 v39, v215, v224, op_sel:[0, 0, 1]

	;;#ASMEND
	; sched_barrier mask(0x00000000)
	s_add_i32 s12, s12, 2
	v_accvgpr_read_b32 v214, a46
	v_cmp_ge_i32_e32 vcc, s12, v214
	s_or_b64 s[14:15], vcc, s[14:15]
	s_andn2_b64 exec, exec, s[14:15]
	s_cbranch_execz .LBB1_144
.LBB1_64:                               ; =>This Loop Header: Depth=1
                                        ;     Child Loop BB1_65 Depth 2
                                        ;     Child Loop BB1_67 Depth 2
	;; [unrolled: 1-line block ×32, first 2 shown]
	v_accvgpr_read_b32 v22, a42
	v_accvgpr_read_b32 v23, a43
	v_accvgpr_write_b32 a15, v62
	v_accvgpr_write_b32 a14, v61
	;; [unrolled: 1-line block ×3, first 2 shown]
	flat_load_dwordx3 v[60:62], v[14:15]
	flat_load_dwordx4 v[208:211], v[22:23]
	v_accvgpr_write_b32 a16, v74
	v_accvgpr_write_b32 a12, v59
	s_mov_b64 s[2:3], exec
	s_waitcnt vmcnt(0) lgkmcnt(0)
	v_lshrrev_b32_e32 v212, 31, v60
	v_lshrrev_b32_e32 v74, 31, v211
	v_and_b32_e32 v23, 0xffff, v209
	v_mov_b32_e32 v22, v208
	v_add_u32_e32 v212, v60, v212
	v_lshl_add_u64 v[208:209], v[210:211], 0, v[74:75]
	v_ashrrev_i32_e32 v212, 1, v212
	v_alignbit_b32 v76, v209, v208, 1
.LBB1_65:                               ;   Parent Loop BB1_64 Depth=1
                                        ; =>  This Inner Loop Header: Depth=2
	v_readfirstlane_b32 s4, v22
	v_readfirstlane_b32 s5, v23
	;; [unrolled: 1-line block ×4, first 2 shown]
	v_cmp_eq_u64_e32 vcc, s[4:5], v[22:23]
	s_nop 0
	v_cmp_eq_u64_e64 s[0:1], s[6:7], v[76:77]
	s_and_b64 s[0:1], vcc, s[0:1]
	s_and_saveexec_b64 s[0:1], s[0:1]
	buffer_load_dwordx4 v[208:211], v212, s[4:7], 0 offen
                                        ; implicit-def: $vgpr212
	s_xor_b64 exec, exec, s[0:1]
	s_cbranch_execnz .LBB1_65
; %bb.66:                               ;   in Loop: Header=BB1_64 Depth=1
	s_mov_b64 exec, s[2:3]
	v_add_u32_e32 v212, 1, v61
	flat_store_dword v[14:15], v212 offset:4
	flat_load_dword v212, v[12:13] offset:16
	s_mov_b64 s[2:3], exec
	v_mov_b32_e32 v74, v58
	s_waitcnt vmcnt(0) lgkmcnt(0)
	v_add_u32_e32 v224, v212, v60
	v_lshrrev_b32_e32 v212, 31, v224
	v_add_u32_e32 v212, v224, v212
	v_ashrrev_i32_e32 v225, 1, v212
	flat_store_dword v[14:15], v224
.LBB1_67:                               ;   Parent Loop BB1_64 Depth=1
                                        ; =>  This Inner Loop Header: Depth=2
	v_readfirstlane_b32 s4, v22
	v_readfirstlane_b32 s5, v23
	;; [unrolled: 1-line block ×4, first 2 shown]
	v_cmp_eq_u64_e32 vcc, s[4:5], v[22:23]
	s_nop 0
	v_cmp_eq_u64_e64 s[0:1], s[6:7], v[76:77]
	s_and_b64 s[0:1], vcc, s[0:1]
	s_and_saveexec_b64 s[0:1], s[0:1]
	buffer_load_dwordx4 v[212:215], v225, s[4:7], 0 offen
                                        ; implicit-def: $vgpr225
	s_xor_b64 exec, exec, s[0:1]
	s_cbranch_execnz .LBB1_67
; %bb.68:                               ;   in Loop: Header=BB1_64 Depth=1
	s_mov_b64 exec, s[2:3]
	v_add_u32_e32 v225, 2, v61
	flat_store_dword v[14:15], v225 offset:4
	flat_load_dword v225, v[12:13] offset:16
	s_mov_b64 s[2:3], exec
	s_waitcnt vmcnt(0) lgkmcnt(0)
	v_add_u32_e32 v228, v225, v224
	v_lshrrev_b32_e32 v224, 31, v228
	v_add_u32_e32 v224, v228, v224
	v_ashrrev_i32_e32 v229, 1, v224
	flat_store_dword v[14:15], v228
.LBB1_69:                               ;   Parent Loop BB1_64 Depth=1
                                        ; =>  This Inner Loop Header: Depth=2
	v_readfirstlane_b32 s4, v22
	v_readfirstlane_b32 s5, v23
	;; [unrolled: 1-line block ×4, first 2 shown]
	v_cmp_eq_u64_e32 vcc, s[4:5], v[22:23]
	s_nop 0
	v_cmp_eq_u64_e64 s[0:1], s[6:7], v[76:77]
	s_and_b64 s[0:1], vcc, s[0:1]
	s_and_saveexec_b64 s[0:1], s[0:1]
	buffer_load_dwordx4 v[224:227], v229, s[4:7], 0 offen
                                        ; implicit-def: $vgpr229
	s_xor_b64 exec, exec, s[0:1]
	s_cbranch_execnz .LBB1_69
; %bb.70:                               ;   in Loop: Header=BB1_64 Depth=1
	s_mov_b64 exec, s[2:3]
	v_add_u32_e32 v229, 3, v61
	flat_store_dword v[14:15], v229 offset:4
	flat_load_dword v229, v[12:13] offset:16
	s_mov_b64 s[2:3], exec
	s_waitcnt vmcnt(0) lgkmcnt(0)
	v_add_u32_e32 v240, v229, v228
	v_lshrrev_b32_e32 v228, 31, v240
	v_add_u32_e32 v228, v240, v228
	v_ashrrev_i32_e32 v241, 1, v228
	flat_store_dword v[14:15], v240
.LBB1_71:                               ;   Parent Loop BB1_64 Depth=1
                                        ; =>  This Inner Loop Header: Depth=2
	v_readfirstlane_b32 s4, v22
	v_readfirstlane_b32 s5, v23
	;; [unrolled: 1-line block ×4, first 2 shown]
	v_cmp_eq_u64_e32 vcc, s[4:5], v[22:23]
	s_nop 0
	v_cmp_eq_u64_e64 s[0:1], s[6:7], v[76:77]
	s_and_b64 s[0:1], vcc, s[0:1]
	s_and_saveexec_b64 s[0:1], s[0:1]
	buffer_load_dwordx4 v[228:231], v241, s[4:7], 0 offen
                                        ; implicit-def: $vgpr241
	s_xor_b64 exec, exec, s[0:1]
	s_cbranch_execnz .LBB1_71
; %bb.72:                               ;   in Loop: Header=BB1_64 Depth=1
	s_mov_b64 exec, s[2:3]
	v_add_u32_e32 v241, 4, v61
	flat_store_dword v[14:15], v241 offset:4
	flat_load_dword v241, v[12:13] offset:16
	s_mov_b64 s[2:3], exec
	s_waitcnt vmcnt(0) lgkmcnt(0)
	v_add_u32_e32 v244, v241, v240
	v_lshrrev_b32_e32 v240, 31, v244
	v_add_u32_e32 v240, v244, v240
	v_ashrrev_i32_e32 v245, 1, v240
	flat_store_dword v[14:15], v244
.LBB1_73:                               ;   Parent Loop BB1_64 Depth=1
                                        ; =>  This Inner Loop Header: Depth=2
	v_readfirstlane_b32 s4, v22
	v_readfirstlane_b32 s5, v23
	;; [unrolled: 1-line block ×4, first 2 shown]
	v_cmp_eq_u64_e32 vcc, s[4:5], v[22:23]
	s_nop 0
	v_cmp_eq_u64_e64 s[0:1], s[6:7], v[76:77]
	s_and_b64 s[0:1], vcc, s[0:1]
	s_and_saveexec_b64 s[0:1], s[0:1]
	buffer_load_dwordx4 v[240:243], v245, s[4:7], 0 offen
                                        ; implicit-def: $vgpr245
	s_xor_b64 exec, exec, s[0:1]
	s_cbranch_execnz .LBB1_73
; %bb.74:                               ;   in Loop: Header=BB1_64 Depth=1
	s_mov_b64 exec, s[2:3]
	v_add_u32_e32 v245, 5, v61
	flat_store_dword v[14:15], v245 offset:4
	flat_load_dword v245, v[12:13] offset:16
	s_mov_b64 s[2:3], exec
	s_waitcnt vmcnt(0) lgkmcnt(0)
	v_add_u32_e32 v40, v245, v244
	v_lshrrev_b32_e32 v244, 31, v40
	v_add_u32_e32 v244, v40, v244
	v_ashrrev_i32_e32 v41, 1, v244
	flat_store_dword v[14:15], v40
.LBB1_75:                               ;   Parent Loop BB1_64 Depth=1
                                        ; =>  This Inner Loop Header: Depth=2
	v_readfirstlane_b32 s4, v22
	v_readfirstlane_b32 s5, v23
	;; [unrolled: 1-line block ×4, first 2 shown]
	v_cmp_eq_u64_e32 vcc, s[4:5], v[22:23]
	s_nop 0
	v_cmp_eq_u64_e64 s[0:1], s[6:7], v[76:77]
	s_and_b64 s[0:1], vcc, s[0:1]
	s_and_saveexec_b64 s[0:1], s[0:1]
	buffer_load_dwordx4 v[244:247], v41, s[4:7], 0 offen
                                        ; implicit-def: $vgpr41
	s_xor_b64 exec, exec, s[0:1]
	s_cbranch_execnz .LBB1_75
; %bb.76:                               ;   in Loop: Header=BB1_64 Depth=1
	s_mov_b64 exec, s[2:3]
	v_add_u32_e32 v41, 6, v61
	flat_store_dword v[14:15], v41 offset:4
	flat_load_dword v41, v[12:13] offset:16
	s_mov_b64 s[2:3], exec
	s_waitcnt vmcnt(0) lgkmcnt(0)
	v_add_u32_e32 v44, v41, v40
	v_lshrrev_b32_e32 v40, 31, v44
	v_add_u32_e32 v40, v44, v40
	v_ashrrev_i32_e32 v45, 1, v40
	flat_store_dword v[14:15], v44
.LBB1_77:                               ;   Parent Loop BB1_64 Depth=1
                                        ; =>  This Inner Loop Header: Depth=2
	v_readfirstlane_b32 s4, v22
	v_readfirstlane_b32 s5, v23
	;; [unrolled: 1-line block ×4, first 2 shown]
	v_cmp_eq_u64_e32 vcc, s[4:5], v[22:23]
	s_nop 0
	v_cmp_eq_u64_e64 s[0:1], s[6:7], v[76:77]
	s_and_b64 s[0:1], vcc, s[0:1]
	s_and_saveexec_b64 s[0:1], s[0:1]
	buffer_load_dwordx4 v[40:43], v45, s[4:7], 0 offen
                                        ; implicit-def: $vgpr45
	s_xor_b64 exec, exec, s[0:1]
	s_cbranch_execnz .LBB1_77
; %bb.78:                               ;   in Loop: Header=BB1_64 Depth=1
	s_mov_b64 exec, s[2:3]
	v_add_u32_e32 v45, 7, v61
	flat_store_dword v[14:15], v45 offset:4
	flat_load_dword v45, v[12:13] offset:16
	s_mov_b64 s[2:3], exec
	s_waitcnt vmcnt(0) lgkmcnt(0)
	v_add_u32_e32 v56, v45, v44
	v_lshrrev_b32_e32 v44, 31, v56
	v_add_u32_e32 v44, v56, v44
	v_ashrrev_i32_e32 v57, 1, v44
	flat_store_dword v[14:15], v56
.LBB1_79:                               ;   Parent Loop BB1_64 Depth=1
                                        ; =>  This Inner Loop Header: Depth=2
	v_readfirstlane_b32 s4, v22
	v_readfirstlane_b32 s5, v23
	;; [unrolled: 1-line block ×4, first 2 shown]
	v_cmp_eq_u64_e32 vcc, s[4:5], v[22:23]
	s_nop 0
	v_cmp_eq_u64_e64 s[0:1], s[6:7], v[76:77]
	s_and_b64 s[0:1], vcc, s[0:1]
	s_and_saveexec_b64 s[0:1], s[0:1]
	buffer_load_dwordx4 v[44:47], v57, s[4:7], 0 offen
                                        ; implicit-def: $vgpr57
                                        ; implicit-def: $vgpr22_vgpr23
	s_xor_b64 exec, exec, s[0:1]
	s_cbranch_execnz .LBB1_79
; %bb.80:                               ;   in Loop: Header=BB1_64 Depth=1
	s_mov_b64 exec, s[2:3]
	flat_store_dword v[14:15], v61 offset:4
	flat_load_dword v22, v[12:13] offset:16
	s_waitcnt vmcnt(0) lgkmcnt(0)
	v_mad_u64_u32 v[22:23], s[0:1], v22, -7, v[56:57]
	v_accvgpr_read_b32 v57, a41
	flat_store_dword v[14:15], v22
	v_accvgpr_read_b32 v56, a40
	flat_load_dwordx4 v[56:59], v[56:57]
	s_waitcnt vmcnt(0) lgkmcnt(0)
	v_add_u32_e32 v154, v61, v56
	flat_load_dwordx2 v[60:61], v[14:15] offset:12
	v_mov_b32_e32 v140, v57
	v_mov_b32_e32 v141, v58
	v_or_b32_e32 v23, v57, v58
	v_or3_b32 v23, v23, v56, v59
	v_pk_mov_b32 v[156:157], v[140:141], v[140:141] op_sel:[1,0]
	v_cmp_ne_u32_e32 vcc, 0, v23
	v_add_u32_e32 v155, v62, v157
	s_waitcnt vmcnt(0) lgkmcnt(0)
	v_add_u32_e32 v157, v61, v59
	v_add_u32_e32 v156, v60, v156
	flat_store_dwordx4 v[14:15], v[154:157] offset:4
	s_and_saveexec_b64 s[0:1], vcc
	s_cbranch_execz .LBB1_82
; %bb.81:                               ;   in Loop: Header=BB1_64 Depth=1
	flat_load_dwordx3 v[60:62], v[12:13] offset:16
	s_waitcnt vmcnt(0) lgkmcnt(0)
	v_mul_lo_u32 v23, v60, v56
	v_mul_lo_u32 v56, v62, v141
	;; [unrolled: 1-line block ×3, first 2 shown]
	v_add3_u32 v22, v59, v22, v23
	v_add3_u32 v22, v22, v57, v56
	flat_store_dword v[14:15], v22
.LBB1_82:                               ;   in Loop: Header=BB1_64 Depth=1
	s_or_b64 exec, exec, s[0:1]
	flat_load_dwordx4 a[8:11], v[20:21]
	v_perm_b32 v11, v182, v11, s13
	v_perm_b32 v16, v16, v126, s13
	v_lshl_or_b32 v11, v16, 16, v11
	v_perm_b32 v16, v181, v105, s13
	v_perm_b32 v17, v17, v18, s13
	v_lshl_or_b32 v16, v17, 16, v16
	v_perm_b32 v17, v180, v63, s13
	v_perm_b32 v10, v10, v124, s13
	;; [unrolled: 1-line block ×3, first 2 shown]
	v_lshl_or_b32 v10, v10, 16, v17
	v_perm_b32 v17, v183, v143, s13
	v_lshlrev_b32_e32 v18, 16, v18
	v_or_b32_e32 v17, v17, v18
	v_perm_b32 v17, v17, v143, s13
	v_or_b32_e32 v17, v17, v18
	v_mov_b32_e32 v18, v10
	s_waitcnt vmcnt(0) lgkmcnt(0)
	v_mfma_f32_16x16x128_f8f6f4 a[8:11], a[0:7], v[24:31], a[8:11]
	s_nop 11
	flat_store_dwordx4 v[20:21], a[8:11]
	flat_load_dwordx4 a[8:11], v[20:21] offset:16
	s_waitcnt vmcnt(0) lgkmcnt(0)
	v_mfma_f32_16x16x128_f8f6f4 a[8:11], a[0:7], v[48:55], a[8:11]
	s_nop 11
	flat_store_dwordx4 v[20:21], a[8:11] offset:16
	flat_load_dwordx4 a[8:11], v[20:21] offset:32
	s_waitcnt vmcnt(0) lgkmcnt(0)
	v_mfma_f32_16x16x128_f8f6f4 a[8:11], a[0:7], v[64:71], a[8:11]
	s_nop 11
	flat_store_dwordx4 v[20:21], a[8:11] offset:32
	;; [unrolled: 5-line block ×6, first 2 shown]
	flat_load_dwordx4 a[8:11], v[20:21] offset:112
	s_waitcnt vmcnt(0) lgkmcnt(0)
	v_mfma_f32_16x16x128_f8f6f4 a[0:3], a[0:7], v[32:39], a[8:11]
	; sched_group_barrier mask(0x00000008) size(1) SyncID(0)
	; sched_group_barrier mask(0x00000020) size(1) SyncID(0)
	;; [unrolled: 1-line block ×20, first 2 shown]
	s_nop 11
	flat_store_dwordx4 v[20:21], a[0:3] offset:112
	flat_load_dwordx2 v[30:31], v[0:1] offset:1148
	flat_load_dwordx2 v[32:33], v[0:1] offset:1164
	flat_load_dwordx4 v[22:25], v[0:1] offset:1176
	flat_load_dwordx3 v[26:28], v[0:1] offset:1132
	flat_load_dwordx2 v[34:35], v[8:9]
	s_waitcnt vmcnt(0) lgkmcnt(0)
	v_sub_u32_e32 v29, v30, v33
	v_add3_u32 v23, v29, v23, 32
	v_ashrrev_i32_e32 v30, 31, v23
	v_lshrrev_b32_e32 v30, 29, v30
	v_add_u32_e32 v30, v23, v30
	v_and_b32_e32 v30, -8, v30
	v_sub_u32_e32 v29, v31, v32
	v_sub_u32_e32 v30, v23, v30
	v_xor_b32_e32 v29, v30, v29
	v_sub_u32_e32 v23, v23, v28
	v_sub_u32_e32 v28, v29, v27
	v_lshl_add_u32 v23, v23, 7, v26
	v_add_u32_e32 v25, 16, v25
	v_lshl_add_u32 v28, v28, 4, v23
	v_ashrrev_i32_e32 v26, 31, v25
	v_ashrrev_i32_e32 v29, 31, v28
	v_lshrrev_b32_e32 v26, 28, v26
	v_lshl_add_u64 v[28:29], v[34:35], 0, v[28:29]
	v_add_u32_e32 v26, v25, v26
	v_add_u32_e32 v22, v32, v22
	flat_load_dwordx4 a[0:3], v[28:29]
	v_lshrrev_b32_e32 v28, 4, v26
	v_sub_u32_e32 v22, v31, v22
	v_add_u32_e32 v22, v22, v28
	v_xor_b32_e32 v22, v22, v30
	v_and_b32_e32 v26, -16, v26
	v_sub_u32_e32 v22, v22, v27
	v_sub_u32_e32 v25, v25, v26
	v_lshlrev_b32_e32 v22, 4, v22
	v_sub_u32_e32 v23, v23, v24
	v_add3_u32 v22, v23, v25, v22
	v_ashrrev_i32_e32 v23, 31, v22
	v_lshl_add_u64 v[22:23], v[34:35], 0, v[22:23]
	flat_load_dwordx4 a[4:7], v[22:23]
	v_perm_b32 v22, v198, v207, s13
	v_perm_b32 v23, v206, v106, s13
	v_lshl_or_b32 v198, v23, 16, v22
	v_perm_b32 v22, v197, v219, s13
	v_perm_b32 v23, v217, v216, s13
	v_lshl_or_b32 v197, v23, 16, v22
	;; [unrolled: 3-line block ×3, first 2 shown]
	v_perm_b32 v23, v200, v190, s13
	v_perm_b32 v22, v199, v191, s13
	v_lshlrev_b32_e32 v23, 16, v23
	v_or_b32_e32 v22, v22, v23
	v_perm_b32 v22, v22, v191, s13
	v_mov_b32_e32 v24, v196
	v_or_b32_e32 v199, v22, v23
	;;#ASMSTART
	v_cvt_off_f32_i4 v25, v24
v_cvt_off_f32_i4 v26, v24, src0_sel:BYTE_2
v_cvt_pk_fp8_f32 v22, v25, v26
v_cvt_off_f32_i4 v25, v24, src0_sel:BYTE_1
v_cvt_off_f32_i4 v26, v24, src0_sel:BYTE_3
v_cvt_pk_fp8_f32 v23, v25, v26
v_lshrrev_b32 v27, 4, v24
v_cvt_off_f32_i4 v25, v27
v_cvt_off_f32_i4 v26, v27, src0_sel:BYTE_2
v_cvt_pk_fp8_f32 v22, v25, v26, op_sel:[0, 0, 1]
v_cvt_off_f32_i4 v25, v27, src0_sel:BYTE_1
v_cvt_off_f32_i4 v26, v27, src0_sel:BYTE_3
v_cvt_pk_fp8_f32 v23, v25, v26, op_sel:[0, 0, 1]

	;;#ASMEND
	s_nop 0
	v_mov_b32_e32 v26, v197
	;;#ASMSTART
	v_cvt_off_f32_i4 v27, v26
v_cvt_off_f32_i4 v28, v26, src0_sel:BYTE_2
v_cvt_pk_fp8_f32 v24, v27, v28
v_cvt_off_f32_i4 v27, v26, src0_sel:BYTE_1
v_cvt_off_f32_i4 v28, v26, src0_sel:BYTE_3
v_cvt_pk_fp8_f32 v25, v27, v28
v_lshrrev_b32 v29, 4, v26
v_cvt_off_f32_i4 v27, v29
v_cvt_off_f32_i4 v28, v29, src0_sel:BYTE_2
v_cvt_pk_fp8_f32 v24, v27, v28, op_sel:[0, 0, 1]
v_cvt_off_f32_i4 v27, v29, src0_sel:BYTE_1
v_cvt_off_f32_i4 v28, v29, src0_sel:BYTE_3
v_cvt_pk_fp8_f32 v25, v27, v28, op_sel:[0, 0, 1]

	;;#ASMEND
	s_nop 0
	v_mov_b32_e32 v28, v198
	;; [unrolled: 18-line block ×3, first 2 shown]
	;;#ASMSTART
	v_cvt_off_f32_i4 v31, v30
v_cvt_off_f32_i4 v32, v30, src0_sel:BYTE_2
v_cvt_pk_fp8_f32 v28, v31, v32
v_cvt_off_f32_i4 v31, v30, src0_sel:BYTE_1
v_cvt_off_f32_i4 v32, v30, src0_sel:BYTE_3
v_cvt_pk_fp8_f32 v29, v31, v32
v_lshrrev_b32 v33, 4, v30
v_cvt_off_f32_i4 v31, v33
v_cvt_off_f32_i4 v32, v33, src0_sel:BYTE_2
v_cvt_pk_fp8_f32 v28, v31, v32, op_sel:[0, 0, 1]
v_cvt_off_f32_i4 v31, v33, src0_sel:BYTE_1
v_cvt_off_f32_i4 v32, v33, src0_sel:BYTE_3
v_cvt_pk_fp8_f32 v29, v31, v32, op_sel:[0, 0, 1]

	;;#ASMEND
	s_nop 0
	v_perm_b32 v30, v194, v204, s13
	v_perm_b32 v31, v201, v138, s13
	v_lshl_or_b32 v194, v31, 16, v30
	v_perm_b32 v30, v193, v205, s13
	v_perm_b32 v31, v203, v202, s13
	v_lshl_or_b32 v193, v31, 16, v30
	;; [unrolled: 3-line block ×3, first 2 shown]
	v_perm_b32 v31, v187, v185, s13
	v_perm_b32 v30, v195, v186, s13
	v_lshlrev_b32_e32 v31, 16, v31
	v_or_b32_e32 v30, v30, v31
	v_perm_b32 v30, v30, v186, s13
	v_mov_b32_e32 v32, v192
	v_or_b32_e32 v195, v30, v31
	;;#ASMSTART
	v_cvt_off_f32_i4 v33, v32
v_cvt_off_f32_i4 v34, v32, src0_sel:BYTE_2
v_cvt_pk_fp8_f32 v30, v33, v34
v_cvt_off_f32_i4 v33, v32, src0_sel:BYTE_1
v_cvt_off_f32_i4 v34, v32, src0_sel:BYTE_3
v_cvt_pk_fp8_f32 v31, v33, v34
v_lshrrev_b32 v35, 4, v32
v_cvt_off_f32_i4 v33, v35
v_cvt_off_f32_i4 v34, v35, src0_sel:BYTE_2
v_cvt_pk_fp8_f32 v30, v33, v34, op_sel:[0, 0, 1]
v_cvt_off_f32_i4 v33, v35, src0_sel:BYTE_1
v_cvt_off_f32_i4 v34, v35, src0_sel:BYTE_3
v_cvt_pk_fp8_f32 v31, v33, v34, op_sel:[0, 0, 1]

	;;#ASMEND
	s_nop 0
	v_mov_b32_e32 v34, v193
	;;#ASMSTART
	v_cvt_off_f32_i4 v35, v34
v_cvt_off_f32_i4 v36, v34, src0_sel:BYTE_2
v_cvt_pk_fp8_f32 v32, v35, v36
v_cvt_off_f32_i4 v35, v34, src0_sel:BYTE_1
v_cvt_off_f32_i4 v36, v34, src0_sel:BYTE_3
v_cvt_pk_fp8_f32 v33, v35, v36
v_lshrrev_b32 v37, 4, v34
v_cvt_off_f32_i4 v35, v37
v_cvt_off_f32_i4 v36, v37, src0_sel:BYTE_2
v_cvt_pk_fp8_f32 v32, v35, v36, op_sel:[0, 0, 1]
v_cvt_off_f32_i4 v35, v37, src0_sel:BYTE_1
v_cvt_off_f32_i4 v36, v37, src0_sel:BYTE_3
v_cvt_pk_fp8_f32 v33, v35, v36, op_sel:[0, 0, 1]

	;;#ASMEND
	s_nop 0
	v_mov_b32_e32 v36, v194
	;; [unrolled: 18-line block ×3, first 2 shown]
	;;#ASMSTART
	v_cvt_off_f32_i4 v39, v38
v_cvt_off_f32_i4 v48, v38, src0_sel:BYTE_2
v_cvt_pk_fp8_f32 v36, v39, v48
v_cvt_off_f32_i4 v39, v38, src0_sel:BYTE_1
v_cvt_off_f32_i4 v48, v38, src0_sel:BYTE_3
v_cvt_pk_fp8_f32 v37, v39, v48
v_lshrrev_b32 v49, 4, v38
v_cvt_off_f32_i4 v39, v49
v_cvt_off_f32_i4 v48, v49, src0_sel:BYTE_2
v_cvt_pk_fp8_f32 v36, v39, v48, op_sel:[0, 0, 1]
v_cvt_off_f32_i4 v39, v49, src0_sel:BYTE_1
v_cvt_off_f32_i4 v48, v49, src0_sel:BYTE_3
v_cvt_pk_fp8_f32 v37, v39, v48, op_sel:[0, 0, 1]

	;;#ASMEND
	s_nop 0
	;;#ASMSTART
	v_cvt_off_f32_i4 v19, v18
v_cvt_off_f32_i4 v38, v18, src0_sel:BYTE_2
v_cvt_pk_fp8_f32 v48, v19, v38
v_cvt_off_f32_i4 v19, v18, src0_sel:BYTE_1
v_cvt_off_f32_i4 v38, v18, src0_sel:BYTE_3
v_cvt_pk_fp8_f32 v49, v19, v38
v_lshrrev_b32 v39, 4, v18
v_cvt_off_f32_i4 v19, v39
v_cvt_off_f32_i4 v38, v39, src0_sel:BYTE_2
v_cvt_pk_fp8_f32 v48, v19, v38, op_sel:[0, 0, 1]
v_cvt_off_f32_i4 v19, v39, src0_sel:BYTE_1
v_cvt_off_f32_i4 v38, v39, src0_sel:BYTE_3
v_cvt_pk_fp8_f32 v49, v19, v38, op_sel:[0, 0, 1]

	;;#ASMEND
	s_nop 0
	v_mov_b32_e32 v18, v16
	;;#ASMSTART
	v_cvt_off_f32_i4 v19, v18
v_cvt_off_f32_i4 v38, v18, src0_sel:BYTE_2
v_cvt_pk_fp8_f32 v50, v19, v38
v_cvt_off_f32_i4 v19, v18, src0_sel:BYTE_1
v_cvt_off_f32_i4 v38, v18, src0_sel:BYTE_3
v_cvt_pk_fp8_f32 v51, v19, v38
v_lshrrev_b32 v39, 4, v18
v_cvt_off_f32_i4 v19, v39
v_cvt_off_f32_i4 v38, v39, src0_sel:BYTE_2
v_cvt_pk_fp8_f32 v50, v19, v38, op_sel:[0, 0, 1]
v_cvt_off_f32_i4 v19, v39, src0_sel:BYTE_1
v_cvt_off_f32_i4 v38, v39, src0_sel:BYTE_3
v_cvt_pk_fp8_f32 v51, v19, v38, op_sel:[0, 0, 1]

	;;#ASMEND
	s_nop 0
	v_mov_b32_e32 v18, v11
	;; [unrolled: 18-line block ×3, first 2 shown]
	;;#ASMSTART
	v_cvt_off_f32_i4 v19, v18
v_cvt_off_f32_i4 v38, v18, src0_sel:BYTE_2
v_cvt_pk_fp8_f32 v54, v19, v38
v_cvt_off_f32_i4 v19, v18, src0_sel:BYTE_1
v_cvt_off_f32_i4 v38, v18, src0_sel:BYTE_3
v_cvt_pk_fp8_f32 v55, v19, v38
v_lshrrev_b32 v39, 4, v18
v_cvt_off_f32_i4 v19, v39
v_cvt_off_f32_i4 v38, v39, src0_sel:BYTE_2
v_cvt_pk_fp8_f32 v54, v19, v38, op_sel:[0, 0, 1]
v_cvt_off_f32_i4 v19, v39, src0_sel:BYTE_1
v_cvt_off_f32_i4 v38, v39, src0_sel:BYTE_3
v_cvt_pk_fp8_f32 v55, v19, v38, op_sel:[0, 0, 1]

	;;#ASMEND
	s_nop 0
	v_perm_b32 v18, v178, v255, s13
	v_perm_b32 v19, v252, v122, s13
	v_lshl_or_b32 v18, v19, 16, v18
	v_perm_b32 v19, v177, v254, s13
	v_perm_b32 v38, v251, v250, s13
	v_lshl_or_b32 v19, v38, 16, v19
	;; [unrolled: 3-line block ×3, first 2 shown]
	v_perm_b32 v39, v248, v238, s13
	v_perm_b32 v38, v179, v239, s13
	v_lshlrev_b32_e32 v39, 16, v39
	v_or_b32_e32 v38, v38, v39
	v_perm_b32 v38, v38, v239, s13
	v_or_b32_e32 v177, v38, v39
	v_mov_b32_e32 v38, v176
	;;#ASMSTART
	v_cvt_off_f32_i4 v39, v38
v_cvt_off_f32_i4 v66, v38, src0_sel:BYTE_2
v_cvt_pk_fp8_f32 v64, v39, v66
v_cvt_off_f32_i4 v39, v38, src0_sel:BYTE_1
v_cvt_off_f32_i4 v66, v38, src0_sel:BYTE_3
v_cvt_pk_fp8_f32 v65, v39, v66
v_lshrrev_b32 v67, 4, v38
v_cvt_off_f32_i4 v39, v67
v_cvt_off_f32_i4 v66, v67, src0_sel:BYTE_2
v_cvt_pk_fp8_f32 v64, v39, v66, op_sel:[0, 0, 1]
v_cvt_off_f32_i4 v39, v67, src0_sel:BYTE_1
v_cvt_off_f32_i4 v66, v67, src0_sel:BYTE_3
v_cvt_pk_fp8_f32 v65, v39, v66, op_sel:[0, 0, 1]

	;;#ASMEND
	s_nop 0
	v_mov_b32_e32 v38, v19
	;;#ASMSTART
	v_cvt_off_f32_i4 v39, v38
v_cvt_off_f32_i4 v68, v38, src0_sel:BYTE_2
v_cvt_pk_fp8_f32 v66, v39, v68
v_cvt_off_f32_i4 v39, v38, src0_sel:BYTE_1
v_cvt_off_f32_i4 v68, v38, src0_sel:BYTE_3
v_cvt_pk_fp8_f32 v67, v39, v68
v_lshrrev_b32 v69, 4, v38
v_cvt_off_f32_i4 v39, v69
v_cvt_off_f32_i4 v68, v69, src0_sel:BYTE_2
v_cvt_pk_fp8_f32 v66, v39, v68, op_sel:[0, 0, 1]
v_cvt_off_f32_i4 v39, v69, src0_sel:BYTE_1
v_cvt_off_f32_i4 v68, v69, src0_sel:BYTE_3
v_cvt_pk_fp8_f32 v67, v39, v68, op_sel:[0, 0, 1]

	;;#ASMEND
	s_nop 0
	;; [unrolled: 18-line block ×4, first 2 shown]
	v_perm_b32 v38, v166, v237, s13
	v_perm_b32 v39, v234, v110, s13
	v_lshl_or_b32 v166, v39, 16, v38
	v_perm_b32 v38, v165, v236, s13
	v_perm_b32 v39, v233, v232, s13
	v_lshl_or_b32 v165, v39, 16, v38
	;; [unrolled: 3-line block ×3, first 2 shown]
	v_perm_b32 v39, v222, v221, s13
	v_perm_b32 v38, v167, v121, s13
	v_lshlrev_b32_e32 v39, 16, v39
	v_or_b32_e32 v38, v38, v39
	v_perm_b32 v38, v38, v121, s13
	v_or_b32_e32 v167, v38, v39
	v_mov_b32_e32 v38, v164
	;;#ASMSTART
	v_cvt_off_f32_i4 v39, v38
v_cvt_off_f32_i4 v82, v38, src0_sel:BYTE_2
v_cvt_pk_fp8_f32 v80, v39, v82
v_cvt_off_f32_i4 v39, v38, src0_sel:BYTE_1
v_cvt_off_f32_i4 v82, v38, src0_sel:BYTE_3
v_cvt_pk_fp8_f32 v81, v39, v82
v_lshrrev_b32 v83, 4, v38
v_cvt_off_f32_i4 v39, v83
v_cvt_off_f32_i4 v82, v83, src0_sel:BYTE_2
v_cvt_pk_fp8_f32 v80, v39, v82, op_sel:[0, 0, 1]
v_cvt_off_f32_i4 v39, v83, src0_sel:BYTE_1
v_cvt_off_f32_i4 v82, v83, src0_sel:BYTE_3
v_cvt_pk_fp8_f32 v81, v39, v82, op_sel:[0, 0, 1]

	;;#ASMEND
	s_nop 0
	v_mov_b32_e32 v38, v165
	;;#ASMSTART
	v_cvt_off_f32_i4 v39, v38
v_cvt_off_f32_i4 v84, v38, src0_sel:BYTE_2
v_cvt_pk_fp8_f32 v82, v39, v84
v_cvt_off_f32_i4 v39, v38, src0_sel:BYTE_1
v_cvt_off_f32_i4 v84, v38, src0_sel:BYTE_3
v_cvt_pk_fp8_f32 v83, v39, v84
v_lshrrev_b32 v85, 4, v38
v_cvt_off_f32_i4 v39, v85
v_cvt_off_f32_i4 v84, v85, src0_sel:BYTE_2
v_cvt_pk_fp8_f32 v82, v39, v84, op_sel:[0, 0, 1]
v_cvt_off_f32_i4 v39, v85, src0_sel:BYTE_1
v_cvt_off_f32_i4 v84, v85, src0_sel:BYTE_3
v_cvt_pk_fp8_f32 v83, v39, v84, op_sel:[0, 0, 1]

	;;#ASMEND
	s_nop 0
	;; [unrolled: 18-line block ×4, first 2 shown]
	v_perm_b32 v38, v146, v123, s13
	v_perm_b32 v39, v137, v78, s13
	v_lshl_or_b32 v178, v39, 16, v38
	v_perm_b32 v38, v145, v127, s13
	v_perm_b32 v39, v111, v109, s13
	v_lshl_or_b32 v179, v39, 16, v38
	;; [unrolled: 3-line block ×3, first 2 shown]
	v_accvgpr_read_b32 v39, a13
	v_accvgpr_read_b32 v96, a14
	v_perm_b32 v39, v96, v39, s13
	v_perm_b32 v38, v147, v107, s13
	v_lshlrev_b32_e32 v39, 16, v39
	v_or_b32_e32 v38, v38, v39
	v_perm_b32 v38, v38, v107, s13
	v_or_b32_e32 v180, v38, v39
	v_mov_b32_e32 v38, v181
	;;#ASMSTART
	v_cvt_off_f32_i4 v39, v38
v_cvt_off_f32_i4 v98, v38, src0_sel:BYTE_2
v_cvt_pk_fp8_f32 v96, v39, v98
v_cvt_off_f32_i4 v39, v38, src0_sel:BYTE_1
v_cvt_off_f32_i4 v98, v38, src0_sel:BYTE_3
v_cvt_pk_fp8_f32 v97, v39, v98
v_lshrrev_b32 v99, 4, v38
v_cvt_off_f32_i4 v39, v99
v_cvt_off_f32_i4 v98, v99, src0_sel:BYTE_2
v_cvt_pk_fp8_f32 v96, v39, v98, op_sel:[0, 0, 1]
v_cvt_off_f32_i4 v39, v99, src0_sel:BYTE_1
v_cvt_off_f32_i4 v98, v99, src0_sel:BYTE_3
v_cvt_pk_fp8_f32 v97, v39, v98, op_sel:[0, 0, 1]

	;;#ASMEND
	s_nop 0
	v_mov_b32_e32 v38, v179
	;;#ASMSTART
	v_cvt_off_f32_i4 v39, v38
v_cvt_off_f32_i4 v100, v38, src0_sel:BYTE_2
v_cvt_pk_fp8_f32 v98, v39, v100
v_cvt_off_f32_i4 v39, v38, src0_sel:BYTE_1
v_cvt_off_f32_i4 v100, v38, src0_sel:BYTE_3
v_cvt_pk_fp8_f32 v99, v39, v100
v_lshrrev_b32 v101, 4, v38
v_cvt_off_f32_i4 v39, v101
v_cvt_off_f32_i4 v100, v101, src0_sel:BYTE_2
v_cvt_pk_fp8_f32 v98, v39, v100, op_sel:[0, 0, 1]
v_cvt_off_f32_i4 v39, v101, src0_sel:BYTE_1
v_cvt_off_f32_i4 v100, v101, src0_sel:BYTE_3
v_cvt_pk_fp8_f32 v99, v39, v100, op_sel:[0, 0, 1]

	;;#ASMEND
	s_nop 0
	;; [unrolled: 18-line block ×4, first 2 shown]
	v_accvgpr_read_b32 v38, a47
	v_perm_b32 v38, v150, v38, s13
	v_perm_b32 v39, v79, v94, s13
	v_lshl_or_b32 v182, v39, 16, v38
	v_accvgpr_read_b32 v39, a15
	v_accvgpr_read_b32 v112, a16
	v_perm_b32 v38, v149, v153, s13
	v_perm_b32 v39, v112, v39, s13
	v_lshl_or_b32 v183, v39, 16, v38
	v_perm_b32 v38, v148, v175, s13
	v_perm_b32 v39, v139, v92, s13
	v_lshl_or_b32 v57, v39, 16, v38
	v_accvgpr_read_b32 v39, a12
	v_perm_b32 v39, v39, v74, s13
	v_perm_b32 v38, v151, v73, s13
	v_lshlrev_b32_e32 v39, 16, v39
	v_or_b32_e32 v38, v38, v39
	v_perm_b32 v38, v38, v73, s13
	v_or_b32_e32 v56, v38, v39
	v_mov_b32_e32 v38, v57
	;;#ASMSTART
	v_cvt_off_f32_i4 v39, v38
v_cvt_off_f32_i4 v114, v38, src0_sel:BYTE_2
v_cvt_pk_fp8_f32 v112, v39, v114
v_cvt_off_f32_i4 v39, v38, src0_sel:BYTE_1
v_cvt_off_f32_i4 v114, v38, src0_sel:BYTE_3
v_cvt_pk_fp8_f32 v113, v39, v114
v_lshrrev_b32 v115, 4, v38
v_cvt_off_f32_i4 v39, v115
v_cvt_off_f32_i4 v114, v115, src0_sel:BYTE_2
v_cvt_pk_fp8_f32 v112, v39, v114, op_sel:[0, 0, 1]
v_cvt_off_f32_i4 v39, v115, src0_sel:BYTE_1
v_cvt_off_f32_i4 v114, v115, src0_sel:BYTE_3
v_cvt_pk_fp8_f32 v113, v39, v114, op_sel:[0, 0, 1]

	;;#ASMEND
	s_nop 0
	v_mov_b32_e32 v38, v183
	;;#ASMSTART
	v_cvt_off_f32_i4 v39, v38
v_cvt_off_f32_i4 v116, v38, src0_sel:BYTE_2
v_cvt_pk_fp8_f32 v114, v39, v116
v_cvt_off_f32_i4 v39, v38, src0_sel:BYTE_1
v_cvt_off_f32_i4 v116, v38, src0_sel:BYTE_3
v_cvt_pk_fp8_f32 v115, v39, v116
v_lshrrev_b32 v117, 4, v38
v_cvt_off_f32_i4 v39, v117
v_cvt_off_f32_i4 v116, v117, src0_sel:BYTE_2
v_cvt_pk_fp8_f32 v114, v39, v116, op_sel:[0, 0, 1]
v_cvt_off_f32_i4 v39, v117, src0_sel:BYTE_1
v_cvt_off_f32_i4 v116, v117, src0_sel:BYTE_3
v_cvt_pk_fp8_f32 v115, v39, v116, op_sel:[0, 0, 1]

	;;#ASMEND
	s_nop 0
	;; [unrolled: 18-line block ×4, first 2 shown]
	v_perm_b32 v38, v162, v173, s13
	v_perm_b32 v39, v170, v90, s13
	v_lshl_or_b32 v58, v39, 16, v38
	v_perm_b32 v38, v161, v174, s13
	v_perm_b32 v39, v172, v171, s13
	v_lshl_or_b32 v59, v39, 16, v38
	;; [unrolled: 3-line block ×3, first 2 shown]
	v_perm_b32 v39, v169, v159, s13
	v_perm_b32 v38, v163, v168, s13
	v_lshlrev_b32_e32 v39, 16, v39
	v_or_b32_e32 v38, v38, v39
	v_perm_b32 v38, v38, v168, s13
	v_or_b32_e32 v163, v38, v39
	v_mov_b32_e32 v38, v60
	;;#ASMSTART
	v_cvt_off_f32_i4 v39, v38
v_cvt_off_f32_i4 v130, v38, src0_sel:BYTE_2
v_cvt_pk_fp8_f32 v128, v39, v130
v_cvt_off_f32_i4 v39, v38, src0_sel:BYTE_1
v_cvt_off_f32_i4 v130, v38, src0_sel:BYTE_3
v_cvt_pk_fp8_f32 v129, v39, v130
v_lshrrev_b32 v131, 4, v38
v_cvt_off_f32_i4 v39, v131
v_cvt_off_f32_i4 v130, v131, src0_sel:BYTE_2
v_cvt_pk_fp8_f32 v128, v39, v130, op_sel:[0, 0, 1]
v_cvt_off_f32_i4 v39, v131, src0_sel:BYTE_1
v_cvt_off_f32_i4 v130, v131, src0_sel:BYTE_3
v_cvt_pk_fp8_f32 v129, v39, v130, op_sel:[0, 0, 1]

	;;#ASMEND
	s_nop 0
	v_mov_b32_e32 v38, v59
	;;#ASMSTART
	v_cvt_off_f32_i4 v39, v38
v_cvt_off_f32_i4 v132, v38, src0_sel:BYTE_2
v_cvt_pk_fp8_f32 v130, v39, v132
v_cvt_off_f32_i4 v39, v38, src0_sel:BYTE_1
v_cvt_off_f32_i4 v132, v38, src0_sel:BYTE_3
v_cvt_pk_fp8_f32 v131, v39, v132
v_lshrrev_b32 v133, 4, v38
v_cvt_off_f32_i4 v39, v133
v_cvt_off_f32_i4 v132, v133, src0_sel:BYTE_2
v_cvt_pk_fp8_f32 v130, v39, v132, op_sel:[0, 0, 1]
v_cvt_off_f32_i4 v39, v133, src0_sel:BYTE_1
v_cvt_off_f32_i4 v132, v133, src0_sel:BYTE_3
v_cvt_pk_fp8_f32 v131, v39, v132, op_sel:[0, 0, 1]

	;;#ASMEND
	s_nop 0
	;; [unrolled: 18-line block ×3, first 2 shown]
	v_mov_b32_e32 v38, v163
	;;#ASMSTART
	v_cvt_off_f32_i4 v39, v38
v_cvt_off_f32_i4 v144, v38, src0_sel:BYTE_2
v_cvt_pk_fp8_f32 v134, v39, v144
v_cvt_off_f32_i4 v39, v38, src0_sel:BYTE_1
v_cvt_off_f32_i4 v144, v38, src0_sel:BYTE_3
v_cvt_pk_fp8_f32 v135, v39, v144
v_lshrrev_b32 v145, 4, v38
v_cvt_off_f32_i4 v39, v145
v_cvt_off_f32_i4 v144, v145, src0_sel:BYTE_2
v_cvt_pk_fp8_f32 v134, v39, v144, op_sel:[0, 0, 1]
v_cvt_off_f32_i4 v39, v145, src0_sel:BYTE_1
v_cvt_off_f32_i4 v144, v145, src0_sel:BYTE_3
v_cvt_pk_fp8_f32 v135, v39, v144, op_sel:[0, 0, 1]

	;;#ASMEND
	; sched_barrier mask(0x00000000)
	flat_load_ubyte v38, v[4:5] offset:304
	flat_load_ubyte v39, v[4:5] offset:320
	;; [unrolled: 1-line block ×7, first 2 shown]
	flat_load_dwordx4 v[144:147], v[4:5] offset:16
	flat_load_dwordx4 v[148:151], v[4:5] offset:32
	;; [unrolled: 1-line block ×7, first 2 shown]
	flat_load_ubyte v63, v[4:5] offset:288
	flat_load_dwordx4 v[124:127], v[4:5]
	; sched_group_barrier mask(0x00000008) size(0) SyncID(0)
	; sched_group_barrier mask(0x00000200) size(1) SyncID(0)
	s_waitcnt vmcnt(0) lgkmcnt(0)
	v_and_b32_e32 v38, 1, v38
	v_and_b32_e32 v39, 1, v39
	v_and_b32_e32 v160, 1, v160
	v_and_b32_e32 v161, 1, v161
	v_and_b32_e32 v162, 1, v162
	v_and_b32_e32 v61, 1, v61
	v_and_b32_e32 v62, 1, v62
	v_cmp_eq_u32_e32 vcc, 1, v38
	v_cmp_eq_u32_e64 s[0:1], 1, v39
	v_cmp_eq_u32_e64 s[2:3], 1, v160
	;; [unrolled: 1-line block ×6, first 2 shown]
	v_cndmask_b32_e32 v147, 0, v147, vcc
	v_cndmask_b32_e32 v146, 0, v146, vcc
	;; [unrolled: 1-line block ×4, first 2 shown]
	v_cndmask_b32_e64 v149, 0, v149, s[0:1]
	v_cndmask_b32_e64 v148, 0, v148, s[0:1]
	;; [unrolled: 1-line block ×24, first 2 shown]
	flat_store_dwordx4 v[4:5], v[144:147] offset:16
	flat_store_dwordx4 v[4:5], v[148:151] offset:32
	;; [unrolled: 1-line block ×7, first 2 shown]
	flat_load_dwordx2 v[136:137], v[4:5] offset:27
	flat_load_dwordx2 v[140:141], v[4:5] offset:43
	;; [unrolled: 1-line block ×6, first 2 shown]
	v_and_b32_e32 v39, 1, v63
	v_cmp_eq_u32_e32 vcc, 1, v39
	v_perm_b32 v39, v146, v146, s18
	flat_store_byte_d16_hi v[4:5], v146 offset:586
	v_lshrrev_b64 v[138:139], 24, v[148:149]
	v_lshlrev_b32_e32 v146, 8, v150
	v_lshrrev_b64 v[142:143], 24, v[88:89]
	v_lshlrev_b32_e32 v147, 8, v90
	;; [unrolled: 2-line block ×6, first 2 shown]
	v_cndmask_b32_e32 v127, 0, v127, vcc
	v_cndmask_b32_e32 v126, 0, v126, vcc
	;; [unrolled: 1-line block ×4, first 2 shown]
	v_perm_b32 v144, v144, v144, s17
	v_alignbit_b32 v151, v123, v122, 24
	v_lshrrev_b32_e32 v161, 24, v123
	v_or_b32_e32 v139, v139, v146
	v_or_b32_e32 v143, v143, v147
	;; [unrolled: 1-line block ×6, first 2 shown]
	flat_load_dword v38, v[4:5] offset:728
	s_nop 0
	flat_store_dwordx4 v[4:5], v[124:127]
	flat_store_dwordx4 v[4:5], v[124:127] offset:560
	flat_store_short v[4:5], v39 offset:584
	flat_store_dwordx2 v[4:5], v[144:145] offset:576
	flat_store_byte v[4:5], v161 offset:687
	flat_store_dword v[4:5], v151 offset:683
	s_waitcnt vmcnt(0) lgkmcnt(0)
	flat_store_dwordx4 v[4:5], v[136:139] offset:587
	flat_store_dwordx4 v[4:5], v[140:143] offset:603
	flat_store_dwordx4 v[4:5], v[152:155] offset:619
	flat_store_dwordx4 v[4:5], v[156:159] offset:635
	flat_store_dwordx4 v[4:5], v[168:171] offset:651
	flat_store_dwordx4 v[4:5], v[172:175] offset:667
	flat_load_dwordx2 v[144:145], v[8:9] offset:16
	v_ashrrev_i32_e32 v39, 31, v38
	s_waitcnt vmcnt(0) lgkmcnt(0)
	v_lshl_add_u64 v[38:39], v[144:145], 0, v[38:39]
	flat_store_dwordx4 v[38:39], v[124:127]
	flat_load_dword v39, v[4:5] offset:776
	v_mov_b32_e32 v38, v75
	flat_load_dwordx4 v[144:147], v[4:5] offset:748
	s_waitcnt vmcnt(0) lgkmcnt(0)
	flat_load_dword v146, v[4:5] offset:764
	flat_load_dword v151, v[4:5] offset:744
	flat_load_dwordx3 v[148:150], v[4:5] offset:728
	v_add_u32_e32 v39, 1, v39
	flat_store_dwordx2 v[4:5], v[38:39] offset:760
	v_sub_u32_e32 v145, v144, v147
	s_waitcnt vmcnt(0) lgkmcnt(0)
	v_sub_u32_e32 v144, v39, v146
	v_add_u32_e32 v144, v151, v144
	v_ashrrev_i32_e32 v38, 31, v144
	v_lshrrev_b32_e32 v38, 29, v38
	v_add_u32_e32 v38, v144, v38
	v_and_b32_e32 v38, -8, v38
	v_sub_u32_e32 v38, v144, v38
	v_xor_b32_e32 v161, v145, v38
	flat_store_dword v[4:5], v39 offset:776
	v_sub_u32_e32 v39, v144, v150
	v_sub_u32_e32 v38, v161, v149
	v_lshlrev_b32_e32 v39, 7, v39
	v_lshlrev_b32_e32 v38, 4, v38
	v_mov_b32_e32 v162, v144
	v_add3_u32 v160, v39, v38, v148
	flat_store_dwordx2 v[4:5], v[144:145] offset:744
	flat_store_dwordx3 v[4:5], v[160:162] offset:728
	flat_load_dwordx2 v[38:39], v[8:9] offset:16
	s_nop 0
	flat_load_dwordx4 v[144:147], v[4:5] offset:576
	v_ashrrev_i32_e32 v161, 31, v160
	s_waitcnt vmcnt(0) lgkmcnt(0)
	v_lshl_add_u64 v[38:39], v[38:39], 0, v[160:161]
	flat_store_dwordx4 v[38:39], v[144:147]
	flat_load_dword v39, v[4:5] offset:776
	s_nop 0
	flat_load_dwordx4 v[144:147], v[4:5] offset:748
	s_waitcnt vmcnt(0) lgkmcnt(0)
	flat_load_dword v146, v[4:5] offset:764
	flat_load_dword v151, v[4:5] offset:744
	flat_load_dwordx3 v[148:150], v[4:5] offset:728
	v_mov_b32_e32 v38, v75
	v_add_u32_e32 v39, 1, v39
	v_sub_u32_e32 v145, v144, v147
	s_waitcnt vmcnt(0) lgkmcnt(0)
	v_sub_u32_e32 v144, v39, v146
	v_add_u32_e32 v144, v151, v144
	flat_store_dwordx2 v[4:5], v[38:39] offset:760
	v_ashrrev_i32_e32 v38, 31, v144
	v_lshrrev_b32_e32 v38, 29, v38
	v_add_u32_e32 v38, v144, v38
	v_and_b32_e32 v38, -8, v38
	v_sub_u32_e32 v38, v144, v38
	v_xor_b32_e32 v161, v145, v38
	flat_store_dword v[4:5], v39 offset:776
	v_sub_u32_e32 v39, v144, v150
	v_sub_u32_e32 v38, v161, v149
	v_lshlrev_b32_e32 v39, 7, v39
	v_lshlrev_b32_e32 v38, 4, v38
	v_mov_b32_e32 v162, v144
	v_add3_u32 v160, v39, v38, v148
	flat_store_dwordx2 v[4:5], v[144:145] offset:744
	flat_store_dwordx3 v[4:5], v[160:162] offset:728
	flat_load_dwordx2 v[38:39], v[8:9] offset:16
	s_nop 0
	flat_load_dwordx4 v[144:147], v[4:5] offset:592
	v_ashrrev_i32_e32 v161, 31, v160
	s_waitcnt vmcnt(0) lgkmcnt(0)
	v_lshl_add_u64 v[38:39], v[38:39], 0, v[160:161]
	flat_store_dwordx4 v[38:39], v[144:147]
	flat_load_dword v39, v[4:5] offset:776
	s_nop 0
	flat_load_dwordx4 v[144:147], v[4:5] offset:748
	s_waitcnt vmcnt(0) lgkmcnt(0)
	flat_load_dword v146, v[4:5] offset:764
	flat_load_dword v151, v[4:5] offset:744
	flat_load_dwordx3 v[148:150], v[4:5] offset:728
	v_mov_b32_e32 v38, v75
	v_add_u32_e32 v39, 1, v39
	v_sub_u32_e32 v145, v144, v147
	s_waitcnt vmcnt(0) lgkmcnt(0)
	v_sub_u32_e32 v144, v39, v146
	v_add_u32_e32 v144, v151, v144
	flat_store_dwordx2 v[4:5], v[38:39] offset:760
	v_ashrrev_i32_e32 v38, 31, v144
	v_lshrrev_b32_e32 v38, 29, v38
	v_add_u32_e32 v38, v144, v38
	v_and_b32_e32 v38, -8, v38
	v_sub_u32_e32 v38, v144, v38
	v_xor_b32_e32 v161, v145, v38
	flat_store_dword v[4:5], v39 offset:776
	v_sub_u32_e32 v39, v144, v150
	v_sub_u32_e32 v38, v161, v149
	v_lshlrev_b32_e32 v39, 7, v39
	v_lshlrev_b32_e32 v38, 4, v38
	v_mov_b32_e32 v162, v144
	v_add3_u32 v160, v39, v38, v148
	flat_store_dwordx2 v[4:5], v[144:145] offset:744
	flat_store_dwordx3 v[4:5], v[160:162] offset:728
	flat_load_dwordx2 v[38:39], v[8:9] offset:16
	s_nop 0
	flat_load_dwordx4 v[144:147], v[4:5] offset:608
	v_ashrrev_i32_e32 v161, 31, v160
	s_waitcnt vmcnt(0) lgkmcnt(0)
	v_lshl_add_u64 v[38:39], v[38:39], 0, v[160:161]
	flat_store_dwordx4 v[38:39], v[144:147]
	flat_load_dword v39, v[4:5] offset:776
	s_nop 0
	flat_load_dwordx4 v[144:147], v[4:5] offset:748
	s_waitcnt vmcnt(0) lgkmcnt(0)
	flat_load_dword v146, v[4:5] offset:764
	flat_load_dword v151, v[4:5] offset:744
	flat_load_dwordx3 v[148:150], v[4:5] offset:728
	v_mov_b32_e32 v38, v75
	v_add_u32_e32 v39, 1, v39
	v_sub_u32_e32 v145, v144, v147
	s_waitcnt vmcnt(0) lgkmcnt(0)
	v_sub_u32_e32 v144, v39, v146
	v_add_u32_e32 v144, v151, v144
	flat_store_dwordx2 v[4:5], v[38:39] offset:760
	v_ashrrev_i32_e32 v38, 31, v144
	v_lshrrev_b32_e32 v38, 29, v38
	v_add_u32_e32 v38, v144, v38
	v_and_b32_e32 v38, -8, v38
	v_sub_u32_e32 v38, v144, v38
	v_xor_b32_e32 v161, v145, v38
	flat_store_dword v[4:5], v39 offset:776
	v_sub_u32_e32 v39, v144, v150
	v_sub_u32_e32 v38, v161, v149
	v_lshlrev_b32_e32 v39, 7, v39
	v_lshlrev_b32_e32 v38, 4, v38
	v_mov_b32_e32 v162, v144
	v_add3_u32 v160, v39, v38, v148
	flat_store_dwordx2 v[4:5], v[144:145] offset:744
	flat_store_dwordx3 v[4:5], v[160:162] offset:728
	flat_load_dwordx2 v[38:39], v[8:9] offset:16
	s_nop 0
	flat_load_dwordx4 v[144:147], v[4:5] offset:624
	v_ashrrev_i32_e32 v161, 31, v160
	s_waitcnt vmcnt(0) lgkmcnt(0)
	v_lshl_add_u64 v[38:39], v[38:39], 0, v[160:161]
	flat_store_dwordx4 v[38:39], v[144:147]
	flat_load_dword v39, v[4:5] offset:776
	s_nop 0
	flat_load_dwordx4 v[144:147], v[4:5] offset:748
	s_waitcnt vmcnt(0) lgkmcnt(0)
	flat_load_dword v146, v[4:5] offset:764
	flat_load_dword v151, v[4:5] offset:744
	flat_load_dwordx3 v[148:150], v[4:5] offset:728
	v_mov_b32_e32 v38, v75
	v_add_u32_e32 v39, 1, v39
	v_sub_u32_e32 v145, v144, v147
	s_waitcnt vmcnt(0) lgkmcnt(0)
	v_sub_u32_e32 v144, v39, v146
	v_add_u32_e32 v144, v151, v144
	flat_store_dwordx2 v[4:5], v[38:39] offset:760
	v_ashrrev_i32_e32 v38, 31, v144
	v_lshrrev_b32_e32 v38, 29, v38
	v_add_u32_e32 v38, v144, v38
	v_and_b32_e32 v38, -8, v38
	v_sub_u32_e32 v38, v144, v38
	v_xor_b32_e32 v161, v145, v38
	flat_store_dword v[4:5], v39 offset:776
	v_sub_u32_e32 v39, v144, v150
	v_sub_u32_e32 v38, v161, v149
	v_lshlrev_b32_e32 v39, 7, v39
	v_lshlrev_b32_e32 v38, 4, v38
	v_mov_b32_e32 v162, v144
	v_add3_u32 v160, v39, v38, v148
	flat_store_dwordx2 v[4:5], v[144:145] offset:744
	flat_store_dwordx3 v[4:5], v[160:162] offset:728
	flat_load_dwordx2 v[38:39], v[8:9] offset:16
	s_nop 0
	flat_load_dwordx4 v[144:147], v[4:5] offset:640
	v_ashrrev_i32_e32 v161, 31, v160
	s_waitcnt vmcnt(0) lgkmcnt(0)
	v_lshl_add_u64 v[38:39], v[38:39], 0, v[160:161]
	flat_store_dwordx4 v[38:39], v[144:147]
	flat_load_dword v39, v[4:5] offset:776
	s_nop 0
	flat_load_dwordx4 v[144:147], v[4:5] offset:748
	s_waitcnt vmcnt(0) lgkmcnt(0)
	flat_load_dword v146, v[4:5] offset:764
	flat_load_dword v151, v[4:5] offset:744
	flat_load_dwordx3 v[148:150], v[4:5] offset:728
	v_mov_b32_e32 v38, v75
	v_add_u32_e32 v39, 1, v39
	v_sub_u32_e32 v145, v144, v147
	s_waitcnt vmcnt(0) lgkmcnt(0)
	v_sub_u32_e32 v144, v39, v146
	v_add_u32_e32 v144, v151, v144
	flat_store_dwordx2 v[4:5], v[38:39] offset:760
	v_ashrrev_i32_e32 v38, 31, v144
	v_lshrrev_b32_e32 v38, 29, v38
	v_add_u32_e32 v38, v144, v38
	v_and_b32_e32 v38, -8, v38
	v_sub_u32_e32 v38, v144, v38
	v_xor_b32_e32 v161, v145, v38
	flat_store_dword v[4:5], v39 offset:776
	v_sub_u32_e32 v39, v144, v150
	v_sub_u32_e32 v38, v161, v149
	v_lshlrev_b32_e32 v39, 7, v39
	v_lshlrev_b32_e32 v38, 4, v38
	v_mov_b32_e32 v162, v144
	v_add3_u32 v160, v39, v38, v148
	flat_store_dwordx2 v[4:5], v[144:145] offset:744
	flat_store_dwordx3 v[4:5], v[160:162] offset:728
	flat_load_dwordx2 v[38:39], v[8:9] offset:16
	s_nop 0
	flat_load_dwordx4 v[144:147], v[4:5] offset:656
	v_ashrrev_i32_e32 v161, 31, v160
	s_waitcnt vmcnt(0) lgkmcnt(0)
	v_lshl_add_u64 v[38:39], v[38:39], 0, v[160:161]
	flat_store_dwordx4 v[38:39], v[144:147]
	flat_load_dword v39, v[4:5] offset:776
	s_nop 0
	flat_load_dwordx4 v[144:147], v[4:5] offset:748
	s_waitcnt vmcnt(0) lgkmcnt(0)
	flat_load_dword v146, v[4:5] offset:764
	flat_load_dword v151, v[4:5] offset:744
	flat_load_dwordx3 v[148:150], v[4:5] offset:728
	v_mov_b32_e32 v38, v75
	v_add_u32_e32 v39, 1, v39
	v_sub_u32_e32 v145, v144, v147
	s_waitcnt vmcnt(0) lgkmcnt(0)
	v_sub_u32_e32 v144, v39, v146
	v_add_u32_e32 v144, v151, v144
	flat_store_dwordx2 v[4:5], v[38:39] offset:760
	v_ashrrev_i32_e32 v38, 31, v144
	v_lshrrev_b32_e32 v38, 29, v38
	v_add_u32_e32 v38, v144, v38
	v_and_b32_e32 v38, -8, v38
	v_sub_u32_e32 v38, v144, v38
	v_xor_b32_e32 v161, v145, v38
	flat_store_dword v[4:5], v39 offset:776
	v_sub_u32_e32 v39, v144, v150
	v_sub_u32_e32 v38, v161, v149
	v_lshlrev_b32_e32 v39, 7, v39
	v_lshlrev_b32_e32 v38, 4, v38
	v_mov_b32_e32 v162, v144
	v_add3_u32 v160, v39, v38, v148
	flat_store_dwordx2 v[4:5], v[144:145] offset:744
	flat_store_dwordx3 v[4:5], v[160:162] offset:728
	flat_load_dwordx2 v[38:39], v[8:9] offset:16
	v_mov_b32_e32 v150, v75
	flat_load_dwordx4 v[144:147], v[4:5] offset:672
	v_ashrrev_i32_e32 v161, 31, v160
	s_waitcnt vmcnt(0) lgkmcnt(0)
	v_lshl_add_u64 v[38:39], v[38:39], 0, v[160:161]
	flat_store_dwordx4 v[38:39], v[144:147]
	flat_load_dword v147, v[4:5] offset:776
	s_nop 0
	flat_load_dwordx2 v[38:39], v[4:5] offset:760
	flat_load_dwordx2 v[148:149], v[4:5] offset:744
	flat_load_dwordx3 v[144:146], v[4:5] offset:728
	s_waitcnt vmcnt(0) lgkmcnt(0)
	v_add_u32_e32 v151, -7, v147
	flat_store_dword v[4:5], v151 offset:776
	v_sub_u32_e32 v161, v149, v38
	v_sub_u32_e32 v38, v151, v39
	v_add_u32_e32 v160, v148, v38
	v_ashrrev_i32_e32 v38, 31, v160
	v_lshrrev_b32_e32 v38, 29, v38
	v_add_u32_e32 v38, v160, v38
	v_and_b32_e32 v38, -8, v38
	v_sub_u32_e32 v38, v160, v38
	v_xor_b32_e32 v147, v161, v38
	v_sub_u32_e32 v39, v160, v146
	v_sub_u32_e32 v38, v147, v145
	v_lshlrev_b32_e32 v39, 7, v39
	v_lshlrev_b32_e32 v38, 4, v38
	v_mov_b32_e32 v148, v160
	v_add3_u32 v146, v39, v38, v144
	flat_store_dwordx2 v[4:5], v[150:151] offset:760
	flat_store_dwordx2 v[4:5], v[160:161] offset:744
	flat_store_dwordx3 v[4:5], v[146:148] offset:728
	flat_load_dwordx4 a[8:11], v[20:21] offset:128
	flat_load_dwordx4 a[12:15], v[20:21] offset:144
	flat_load_dwordx4 a[16:19], v[20:21] offset:160
	flat_load_dwordx4 a[20:23], v[20:21] offset:176
	flat_load_dwordx4 a[24:27], v[20:21] offset:192
	flat_load_dwordx4 a[28:31], v[20:21] offset:208
	flat_load_dwordx4 a[32:35], v[20:21] offset:224
	flat_load_dwordx4 a[36:39], v[20:21] offset:240
	s_waitcnt vmcnt(0) lgkmcnt(0)
	v_mfma_f32_16x16x128_f8f6f4 a[8:11], a[0:7], v[22:29], a[8:11]
	; sched_group_barrier mask(0x00000008) size(1) SyncID(0)
	; sched_group_barrier mask(0x00000100) size(1) SyncID(0)
	;; [unrolled: 1-line block ×4, first 2 shown]
	s_nop 11
	flat_store_dwordx4 v[20:21], a[8:11] offset:128
	v_mfma_f32_16x16x128_f8f6f4 a[12:15], a[0:7], v[30:37], a[12:15]
	; sched_group_barrier mask(0x00000008) size(1) SyncID(0)
	; sched_group_barrier mask(0x00000100) size(1) SyncID(0)
	v_mfma_f32_16x16x128_f8f6f4 a[16:19], a[0:7], v[48:55], a[16:19]
	; sched_group_barrier mask(0x00000008) size(1) SyncID(0)
	; sched_group_barrier mask(0x00000200) size(1) SyncID(0)
	s_nop 10
	flat_store_dwordx4 v[20:21], a[12:15] offset:144
	v_mfma_f32_16x16x128_f8f6f4 a[20:23], a[0:7], v[64:71], a[20:23]
	; sched_group_barrier mask(0x00000008) size(1) SyncID(0)
	; sched_group_barrier mask(0x00000200) size(1) SyncID(0)
	flat_store_dwordx4 v[20:21], a[16:19] offset:160
	v_mfma_f32_16x16x128_f8f6f4 a[24:27], a[0:7], v[80:87], a[24:27]
	; sched_group_barrier mask(0x00000008) size(1) SyncID(0)
	; sched_group_barrier mask(0x00000200) size(1) SyncID(0)
	s_nop 9
	flat_store_dwordx4 v[20:21], a[20:23] offset:176
	v_mfma_f32_16x16x128_f8f6f4 a[28:31], a[0:7], v[96:103], a[28:31]
	; sched_group_barrier mask(0x00000008) size(1) SyncID(0)
	; sched_group_barrier mask(0x00000200) size(1) SyncID(0)
	flat_store_dwordx4 v[20:21], a[24:27] offset:192
	;; [unrolled: 9-line block ×3, first 2 shown]
	s_nop 10
	flat_store_dwordx4 v[20:21], a[0:3] offset:240
	flat_load_dwordx2 v[30:31], v[0:1] offset:1148
	flat_load_dwordx2 v[32:33], v[0:1] offset:1164
	flat_load_dwordx4 v[22:25], v[0:1] offset:1176
	flat_load_dwordx3 v[26:28], v[0:1] offset:1132
	flat_load_dwordx2 v[34:35], v[8:9]
	s_waitcnt vmcnt(0) lgkmcnt(0)
	v_sub_u32_e32 v29, v30, v33
	v_add_u32_e32 v25, 16, v25
	v_add_u32_e32 v22, v32, v22
	v_add3_u32 v23, v29, v23, 64
	v_sub_u32_e32 v30, v31, v32
	v_ashrrev_i32_e32 v29, 31, v25
	v_sub_u32_e32 v22, v31, v22
	v_ashrrev_i32_e32 v31, 31, v23
	v_sub_u32_e32 v28, v23, v28
	v_lshrrev_b32_e32 v29, 28, v29
	v_lshrrev_b32_e32 v31, 29, v31
	v_lshl_add_u32 v26, v28, 7, v26
	v_add_u32_e32 v28, v25, v29
	v_add_u32_e32 v29, v23, v31
	v_lshrrev_b32_e32 v31, 4, v28
	v_and_b32_e32 v29, -8, v29
	v_and_b32_e32 v28, -16, v28
	v_add_u32_e32 v22, v22, v31
	v_sub_u32_e32 v23, v23, v29
	v_sub_u32_e32 v25, v25, v28
	v_xor_b32_e32 v28, v23, v30
	v_xor_b32_e32 v22, v22, v23
	v_sub_u32_e32 v23, v28, v27
	v_sub_u32_e32 v27, v22, v27
	v_sub_u32_e32 v24, v26, v24
	v_lshl_add_u32 v22, v23, 4, v26
	v_lshlrev_b32_e32 v26, 4, v27
	v_ashrrev_i32_e32 v23, 31, v22
	v_add3_u32 v24, v24, v25, v26
	v_lshl_add_u64 v[22:23], v[34:35], 0, v[22:23]
	v_ashrrev_i32_e32 v25, 31, v24
	flat_load_dwordx4 a[0:3], v[22:23]
	v_lshl_add_u64 v[22:23], v[34:35], 0, v[24:25]
	flat_load_dwordx4 a[4:7], v[22:23]
	v_mov_b32_e32 v22, v196
	;;#ASMSTART
	v_cvt_off_f32_i4 v23, v22
v_cvt_off_f32_i4 v24, v22, src0_sel:BYTE_2
v_cvt_pk_fp8_f32 v128, v23, v24
v_cvt_off_f32_i4 v23, v22, src0_sel:BYTE_1
v_cvt_off_f32_i4 v24, v22, src0_sel:BYTE_3
v_cvt_pk_fp8_f32 v129, v23, v24
v_lshrrev_b32 v25, 4, v22
v_cvt_off_f32_i4 v23, v25
v_cvt_off_f32_i4 v24, v25, src0_sel:BYTE_2
v_cvt_pk_fp8_f32 v128, v23, v24, op_sel:[0, 0, 1]
v_cvt_off_f32_i4 v23, v25, src0_sel:BYTE_1
v_cvt_off_f32_i4 v24, v25, src0_sel:BYTE_3
v_cvt_pk_fp8_f32 v129, v23, v24, op_sel:[0, 0, 1]

	;;#ASMEND
	s_nop 0
	v_mov_b32_e32 v22, v197
	;;#ASMSTART
	v_cvt_off_f32_i4 v23, v22
v_cvt_off_f32_i4 v24, v22, src0_sel:BYTE_2
v_cvt_pk_fp8_f32 v130, v23, v24
v_cvt_off_f32_i4 v23, v22, src0_sel:BYTE_1
v_cvt_off_f32_i4 v24, v22, src0_sel:BYTE_3
v_cvt_pk_fp8_f32 v131, v23, v24
v_lshrrev_b32 v25, 4, v22
v_cvt_off_f32_i4 v23, v25
v_cvt_off_f32_i4 v24, v25, src0_sel:BYTE_2
v_cvt_pk_fp8_f32 v130, v23, v24, op_sel:[0, 0, 1]
v_cvt_off_f32_i4 v23, v25, src0_sel:BYTE_1
v_cvt_off_f32_i4 v24, v25, src0_sel:BYTE_3
v_cvt_pk_fp8_f32 v131, v23, v24, op_sel:[0, 0, 1]

	;;#ASMEND
	s_nop 0
	;; [unrolled: 18-line block ×31, first 2 shown]
	v_mov_b32_e32 v38, v163
	;;#ASMSTART
	v_cvt_off_f32_i4 v39, v38
v_cvt_off_f32_i4 v144, v38, src0_sel:BYTE_2
v_cvt_pk_fp8_f32 v102, v39, v144
v_cvt_off_f32_i4 v39, v38, src0_sel:BYTE_1
v_cvt_off_f32_i4 v144, v38, src0_sel:BYTE_3
v_cvt_pk_fp8_f32 v103, v39, v144
v_lshrrev_b32 v145, 4, v38
v_cvt_off_f32_i4 v39, v145
v_cvt_off_f32_i4 v144, v145, src0_sel:BYTE_2
v_cvt_pk_fp8_f32 v102, v39, v144, op_sel:[0, 0, 1]
v_cvt_off_f32_i4 v39, v145, src0_sel:BYTE_1
v_cvt_off_f32_i4 v144, v145, src0_sel:BYTE_3
v_cvt_pk_fp8_f32 v103, v39, v144, op_sel:[0, 0, 1]

	;;#ASMEND
	; sched_barrier mask(0x00000000)
	s_nop 0
	v_mov_b32_e32 v38, 1
	flat_store_byte v[4:5], v38 offset:288
	flat_load_dwordx4 v[144:147], v[6:7]
	s_waitcnt vmcnt(0) lgkmcnt(0)
	v_mov_b32_e32 v147, v77
	flat_load_dwordx2 v[38:39], v[4:5] offset:704
	s_mov_b64 s[2:3], exec
	v_and_b32_e32 v145, 0xffff, v145
	s_waitcnt vmcnt(0)
.LBB1_83:                               ;   Parent Loop BB1_64 Depth=1
                                        ; =>  This Inner Loop Header: Depth=2
	v_readfirstlane_b32 s4, v144
	v_readfirstlane_b32 s5, v145
	v_readfirstlane_b32 s6, v146
	v_readfirstlane_b32 s7, v147
	v_cmp_eq_u64_e32 vcc, s[4:5], v[144:145]
	s_nop 0
	v_cmp_eq_u64_e64 s[0:1], s[6:7], v[146:147]
	s_and_b64 s[0:1], vcc, s[0:1]
	s_and_saveexec_b64 s[0:1], s[0:1]
	s_waitcnt lgkmcnt(0)
	buffer_load_dwordx4 v[148:151], v38, s[4:7], 0 offen
                                        ; implicit-def: $vgpr144_vgpr145_vgpr146_vgpr147
	s_xor_b64 exec, exec, s[0:1]
	s_cbranch_execnz .LBB1_83
; %bb.84:                               ;   in Loop: Header=BB1_64 Depth=1
	s_mov_b64 exec, s[2:3]
	flat_load_dwordx3 v[160:162], v[4:5] offset:716
	v_add_u32_e32 v144, 1, v39
	flat_store_dword v[4:5], v144 offset:708
	s_waitcnt vmcnt(0)
	flat_store_dwordx4 v[4:5], v[148:151]
	v_mov_b32_e32 v145, 1
	flat_store_byte v[4:5], v145 offset:304
	s_mov_b64 s[2:3], exec
	s_waitcnt lgkmcnt(0)
	v_add_u32_e32 v144, 1, v162
	flat_store_dword v[4:5], v144 offset:724
	flat_load_dword v144, v[2:3] offset:8
	s_waitcnt vmcnt(0) lgkmcnt(0)
	v_add_u32_e32 v38, v144, v38
	flat_store_dword v[4:5], v38 offset:704
	flat_load_dwordx4 v[144:147], v[6:7]
	s_waitcnt vmcnt(0) lgkmcnt(0)
	v_mov_b32_e32 v147, v77
	v_and_b32_e32 v145, 0xffff, v145
.LBB1_85:                               ;   Parent Loop BB1_64 Depth=1
                                        ; =>  This Inner Loop Header: Depth=2
	v_readfirstlane_b32 s4, v144
	v_readfirstlane_b32 s5, v145
	v_readfirstlane_b32 s6, v146
	v_readfirstlane_b32 s7, v147
	v_cmp_eq_u64_e32 vcc, s[4:5], v[144:145]
	s_nop 0
	v_cmp_eq_u64_e64 s[0:1], s[6:7], v[146:147]
	s_and_b64 s[0:1], vcc, s[0:1]
	s_and_saveexec_b64 s[0:1], s[0:1]
	buffer_load_dwordx4 v[148:151], v38, s[4:7], 0 offen
                                        ; implicit-def: $vgpr144_vgpr145_vgpr146_vgpr147
	s_xor_b64 exec, exec, s[0:1]
	s_cbranch_execnz .LBB1_85
; %bb.86:                               ;   in Loop: Header=BB1_64 Depth=1
	s_mov_b64 exec, s[2:3]
	v_add_u32_e32 v144, 2, v162
	flat_store_dword v[4:5], v144 offset:724
	v_add_u32_e32 v144, 2, v39
	s_waitcnt vmcnt(0)
	flat_store_dwordx4 v[4:5], v[148:151] offset:16
	flat_store_dword v[4:5], v144 offset:708
	flat_load_dword v144, v[2:3] offset:8
	v_mov_b32_e32 v145, 1
	flat_store_byte v[4:5], v145 offset:320
	s_mov_b64 s[2:3], exec
	s_waitcnt vmcnt(0) lgkmcnt(0)
	v_add_u32_e32 v38, v144, v38
	flat_store_dword v[4:5], v38 offset:704
	flat_load_dwordx4 v[144:147], v[6:7]
	s_waitcnt vmcnt(0) lgkmcnt(0)
	v_mov_b32_e32 v147, v77
	v_and_b32_e32 v145, 0xffff, v145
.LBB1_87:                               ;   Parent Loop BB1_64 Depth=1
                                        ; =>  This Inner Loop Header: Depth=2
	v_readfirstlane_b32 s4, v144
	v_readfirstlane_b32 s5, v145
	v_readfirstlane_b32 s6, v146
	v_readfirstlane_b32 s7, v147
	v_cmp_eq_u64_e32 vcc, s[4:5], v[144:145]
	s_nop 0
	v_cmp_eq_u64_e64 s[0:1], s[6:7], v[146:147]
	s_and_b64 s[0:1], vcc, s[0:1]
	s_and_saveexec_b64 s[0:1], s[0:1]
	buffer_load_dwordx4 v[148:151], v38, s[4:7], 0 offen
                                        ; implicit-def: $vgpr144_vgpr145_vgpr146_vgpr147
	s_xor_b64 exec, exec, s[0:1]
	s_cbranch_execnz .LBB1_87
; %bb.88:                               ;   in Loop: Header=BB1_64 Depth=1
	s_mov_b64 exec, s[2:3]
	v_add_u32_e32 v144, 3, v162
	flat_store_dword v[4:5], v144 offset:724
	v_add_u32_e32 v144, 3, v39
	s_waitcnt vmcnt(0)
	flat_store_dwordx4 v[4:5], v[148:151] offset:32
	flat_store_dword v[4:5], v144 offset:708
	flat_load_dword v144, v[2:3] offset:8
	v_mov_b32_e32 v145, 1
	flat_store_byte v[4:5], v145 offset:336
	s_mov_b64 s[2:3], exec
	;; [unrolled: 34-line block ×5, first 2 shown]
	s_waitcnt vmcnt(0) lgkmcnt(0)
	v_add_u32_e32 v38, v144, v38
	flat_store_dword v[4:5], v38 offset:704
	flat_load_dwordx4 v[144:147], v[6:7]
	s_waitcnt vmcnt(0) lgkmcnt(0)
	v_mov_b32_e32 v147, v77
	v_and_b32_e32 v145, 0xffff, v145
.LBB1_95:                               ;   Parent Loop BB1_64 Depth=1
                                        ; =>  This Inner Loop Header: Depth=2
	v_readfirstlane_b32 s4, v144
	v_readfirstlane_b32 s5, v145
	;; [unrolled: 1-line block ×4, first 2 shown]
	v_cmp_eq_u64_e32 vcc, s[4:5], v[144:145]
	s_nop 0
	v_cmp_eq_u64_e64 s[0:1], s[6:7], v[146:147]
	s_and_b64 s[0:1], vcc, s[0:1]
	s_and_saveexec_b64 s[0:1], s[0:1]
	buffer_load_dwordx4 v[148:151], v38, s[4:7], 0 offen
                                        ; implicit-def: $vgpr144_vgpr145_vgpr146_vgpr147
	s_xor_b64 exec, exec, s[0:1]
	s_cbranch_execnz .LBB1_95
; %bb.96:                               ;   in Loop: Header=BB1_64 Depth=1
	s_mov_b64 exec, s[2:3]
	v_add_u32_e32 v144, 7, v162
	flat_store_dword v[4:5], v144 offset:724
	v_add_u32_e32 v144, 7, v39
	s_waitcnt vmcnt(0)
	flat_store_dwordx4 v[4:5], v[148:151] offset:96
	flat_store_dword v[4:5], v144 offset:708
	flat_load_dword v144, v[2:3] offset:8
	s_mov_b64 s[2:3], exec
	s_waitcnt vmcnt(0) lgkmcnt(0)
	v_add_u32_e32 v61, v144, v38
	flat_store_dword v[4:5], v61 offset:704
	flat_load_dwordx4 v[144:147], v[6:7]
	v_mov_b32_e32 v38, 1
	s_waitcnt vmcnt(0) lgkmcnt(0)
	v_mov_b32_e32 v147, v77
	flat_store_byte v[4:5], v38 offset:400
	v_and_b32_e32 v145, 0xffff, v145
.LBB1_97:                               ;   Parent Loop BB1_64 Depth=1
                                        ; =>  This Inner Loop Header: Depth=2
	v_readfirstlane_b32 s4, v144
	v_readfirstlane_b32 s5, v145
	;; [unrolled: 1-line block ×4, first 2 shown]
	v_cmp_eq_u64_e32 vcc, s[4:5], v[144:145]
	s_nop 0
	v_cmp_eq_u64_e64 s[0:1], s[6:7], v[146:147]
	s_and_b64 s[0:1], vcc, s[0:1]
	s_and_saveexec_b64 s[0:1], s[0:1]
	buffer_load_dwordx4 v[148:151], v61, s[4:7], 0 offen
                                        ; implicit-def: $vgpr144_vgpr145_vgpr146_vgpr147
	s_xor_b64 exec, exec, s[0:1]
	s_cbranch_execnz .LBB1_97
; %bb.98:                               ;   in Loop: Header=BB1_64 Depth=1
	s_mov_b64 exec, s[2:3]
	v_accvgpr_read_b32 v145, a45
	s_waitcnt vmcnt(0)
	flat_store_dwordx4 v[4:5], v[148:151] offset:112
	v_accvgpr_read_b32 v144, a44
	flat_load_dwordx3 v[144:146], v[144:145]
	s_waitcnt vmcnt(0) lgkmcnt(0)
	v_add_u32_e32 v147, -7, v145
	v_add_u32_e32 v150, v145, v162
	v_add_u32_e32 v149, v161, v146
	;; [unrolled: 1-line block ×3, first 2 shown]
	v_cmp_ne_u32_e32 vcc, 0, v147
	flat_store_dwordx3 v[4:5], v[148:150] offset:716
	s_and_saveexec_b64 s[0:1], vcc
	s_cbranch_execz .LBB1_100
; %bb.99:                               ;   in Loop: Header=BB1_64 Depth=1
	v_add_u32_e32 v38, v145, v39
	flat_store_dword v[4:5], v38 offset:708
.LBB1_100:                              ;   in Loop: Header=BB1_64 Depth=1
	s_or_b64 exec, exec, s[0:1]
	v_or_b32_e32 v145, v146, v144
	v_mov_b32_e32 v38, 0
	v_cmp_ne_u32_e32 vcc, 0, v145
	s_and_saveexec_b64 s[0:1], vcc
	s_cbranch_execz .LBB1_102
; %bb.101:                              ;   in Loop: Header=BB1_64 Depth=1
	flat_load_dword v39, v[2:3] offset:24
	flat_load_dword v148, v[4:5] offset:712
	v_mov_b32_e32 v38, v146
	s_waitcnt vmcnt(0) lgkmcnt(0)
	v_mad_u64_u32 v[38:39], s[2:3], v39, v144, v[38:39]
	v_add_u32_e32 v39, v38, v148
	flat_store_dword v[4:5], v39 offset:712
.LBB1_102:                              ;   in Loop: Header=BB1_64 Depth=1
	s_or_b64 exec, exec, s[0:1]
	v_or_b32_e32 v39, v145, v147
	v_cmp_ne_u32_e32 vcc, 0, v39
	s_and_saveexec_b64 s[0:1], vcc
	s_cbranch_execz .LBB1_104
; %bb.103:                              ;   in Loop: Header=BB1_64 Depth=1
	flat_load_dword v39, v[2:3] offset:8
	s_waitcnt vmcnt(0) lgkmcnt(0)
	v_mul_lo_u32 v39, v39, v147
	v_add3_u32 v38, v38, v61, v39
	flat_store_dword v[4:5], v38 offset:704
.LBB1_104:                              ;   in Loop: Header=BB1_64 Depth=1
	s_or_b64 exec, exec, s[0:1]
	flat_load_dwordx4 a[8:11], v[20:21] offset:256
	; sched_group_barrier mask(0x00000008) size(0) SyncID(0)
	; sched_group_barrier mask(0x00000020) size(1) SyncID(0)
	s_waitcnt vmcnt(0) lgkmcnt(0)
	v_mfma_f32_16x16x128_f8f6f4 a[8:11], a[0:7], v[128:135], a[8:11]
	flat_load_dwordx4 a[12:15], v[20:21] offset:272
	; sched_group_barrier mask(0x00000008) size(1) SyncID(0)
	; sched_group_barrier mask(0x00000100) size(1) SyncID(0)
	;; [unrolled: 1-line block ×4, first 2 shown]
	s_nop 10
	flat_store_dwordx4 v[20:21], a[8:11] offset:256
	s_waitcnt vmcnt(0) lgkmcnt(0)
	v_mfma_f32_16x16x128_f8f6f4 a[12:15], a[0:7], v[112:119], a[12:15]
	flat_load_dwordx4 a[16:19], v[20:21] offset:368
	; sched_group_barrier mask(0x00000008) size(1) SyncID(0)
	; sched_group_barrier mask(0x00000100) size(1) SyncID(0)
	s_nop 10
	flat_store_dwordx4 v[20:21], a[12:15] offset:272
	s_waitcnt vmcnt(0) lgkmcnt(0)
	v_mfma_f32_16x16x128_f8f6f4 a[16:19], a[0:7], v[96:103], a[16:19]
	flat_load_dwordx4 a[20:23], v[20:21] offset:288
	s_nop 10
	flat_store_dwordx4 v[20:21], a[16:19] offset:368
	s_waitcnt vmcnt(0) lgkmcnt(0)
	v_mfma_f32_16x16x128_f8f6f4 a[20:23], a[0:7], v[22:29], a[20:23]
	flat_load_dwordx4 a[24:27], v[20:21] offset:304
	;; [unrolled: 5-line block ×5, first 2 shown]
	s_nop 10
	flat_store_dwordx4 v[20:21], a[32:35] offset:336
	s_waitcnt vmcnt(0) lgkmcnt(0)
	v_mfma_f32_16x16x128_f8f6f4 a[0:3], a[0:7], v[64:71], a[36:39]
	; sched_group_barrier mask(0x00000008) size(1) SyncID(0)
	; sched_group_barrier mask(0x00000020) size(1) SyncID(0)
	;; [unrolled: 1-line block ×12, first 2 shown]
	s_nop 11
	flat_store_dwordx4 v[20:21], a[0:3] offset:352
	flat_load_dwordx2 v[30:31], v[0:1] offset:1148
	flat_load_dwordx2 v[32:33], v[0:1] offset:1164
	flat_load_dwordx4 v[22:25], v[0:1] offset:1176
	flat_load_dwordx3 v[26:28], v[0:1] offset:1132
	flat_load_dwordx2 v[34:35], v[8:9]
	s_waitcnt vmcnt(0) lgkmcnt(0)
	v_sub_u32_e32 v29, v30, v33
	v_add_u32_e32 v25, 16, v25
	v_add_u32_e32 v22, v32, v22
	v_add3_u32 v23, v29, v23, s19
	v_sub_u32_e32 v30, v31, v32
	v_ashrrev_i32_e32 v29, 31, v25
	v_sub_u32_e32 v22, v31, v22
	v_ashrrev_i32_e32 v31, 31, v23
	v_sub_u32_e32 v28, v23, v28
	v_lshrrev_b32_e32 v29, 28, v29
	v_lshrrev_b32_e32 v31, 29, v31
	v_lshl_add_u32 v26, v28, 7, v26
	v_add_u32_e32 v28, v25, v29
	v_add_u32_e32 v29, v23, v31
	v_lshrrev_b32_e32 v31, 4, v28
	v_and_b32_e32 v29, -8, v29
	v_and_b32_e32 v28, -16, v28
	v_add_u32_e32 v22, v22, v31
	v_sub_u32_e32 v23, v23, v29
	v_sub_u32_e32 v25, v25, v28
	v_xor_b32_e32 v28, v23, v30
	v_xor_b32_e32 v22, v22, v23
	v_sub_u32_e32 v23, v28, v27
	v_sub_u32_e32 v27, v22, v27
	;; [unrolled: 1-line block ×3, first 2 shown]
	v_lshl_add_u32 v22, v23, 4, v26
	v_lshlrev_b32_e32 v26, 4, v27
	v_ashrrev_i32_e32 v23, 31, v22
	v_add3_u32 v24, v24, v25, v26
	v_lshl_add_u64 v[22:23], v[34:35], 0, v[22:23]
	v_ashrrev_i32_e32 v25, 31, v24
	flat_load_dwordx4 v[88:91], v[22:23]
	v_lshl_add_u64 v[22:23], v[34:35], 0, v[24:25]
	flat_load_dwordx4 v[92:95], v[22:23]
	v_mov_b32_e32 v24, v196
	;;#ASMSTART
	v_cvt_off_f32_i4 v25, v24
v_cvt_off_f32_i4 v26, v24, src0_sel:BYTE_2
v_cvt_pk_fp8_f32 v22, v25, v26
v_cvt_off_f32_i4 v25, v24, src0_sel:BYTE_1
v_cvt_off_f32_i4 v26, v24, src0_sel:BYTE_3
v_cvt_pk_fp8_f32 v23, v25, v26
v_lshrrev_b32 v27, 4, v24
v_cvt_off_f32_i4 v25, v27
v_cvt_off_f32_i4 v26, v27, src0_sel:BYTE_2
v_cvt_pk_fp8_f32 v22, v25, v26, op_sel:[0, 0, 1]
v_cvt_off_f32_i4 v25, v27, src0_sel:BYTE_1
v_cvt_off_f32_i4 v26, v27, src0_sel:BYTE_3
v_cvt_pk_fp8_f32 v23, v25, v26, op_sel:[0, 0, 1]

	;;#ASMEND
	s_nop 0
	v_mov_b32_e32 v26, v197
	;;#ASMSTART
	v_cvt_off_f32_i4 v27, v26
v_cvt_off_f32_i4 v28, v26, src0_sel:BYTE_2
v_cvt_pk_fp8_f32 v24, v27, v28
v_cvt_off_f32_i4 v27, v26, src0_sel:BYTE_1
v_cvt_off_f32_i4 v28, v26, src0_sel:BYTE_3
v_cvt_pk_fp8_f32 v25, v27, v28
v_lshrrev_b32 v29, 4, v26
v_cvt_off_f32_i4 v27, v29
v_cvt_off_f32_i4 v28, v29, src0_sel:BYTE_2
v_cvt_pk_fp8_f32 v24, v27, v28, op_sel:[0, 0, 1]
v_cvt_off_f32_i4 v27, v29, src0_sel:BYTE_1
v_cvt_off_f32_i4 v28, v29, src0_sel:BYTE_3
v_cvt_pk_fp8_f32 v25, v27, v28, op_sel:[0, 0, 1]

	;;#ASMEND
	s_nop 0
	v_mov_b32_e32 v28, v198
	;;#ASMSTART
	v_cvt_off_f32_i4 v29, v28
v_cvt_off_f32_i4 v30, v28, src0_sel:BYTE_2
v_cvt_pk_fp8_f32 v26, v29, v30
v_cvt_off_f32_i4 v29, v28, src0_sel:BYTE_1
v_cvt_off_f32_i4 v30, v28, src0_sel:BYTE_3
v_cvt_pk_fp8_f32 v27, v29, v30
v_lshrrev_b32 v31, 4, v28
v_cvt_off_f32_i4 v29, v31
v_cvt_off_f32_i4 v30, v31, src0_sel:BYTE_2
v_cvt_pk_fp8_f32 v26, v29, v30, op_sel:[0, 0, 1]
v_cvt_off_f32_i4 v29, v31, src0_sel:BYTE_1
v_cvt_off_f32_i4 v30, v31, src0_sel:BYTE_3
v_cvt_pk_fp8_f32 v27, v29, v30, op_sel:[0, 0, 1]

	;;#ASMEND
	s_nop 0
	v_mov_b32_e32 v30, v199
	;;#ASMSTART
	v_cvt_off_f32_i4 v31, v30
v_cvt_off_f32_i4 v32, v30, src0_sel:BYTE_2
v_cvt_pk_fp8_f32 v28, v31, v32
v_cvt_off_f32_i4 v31, v30, src0_sel:BYTE_1
v_cvt_off_f32_i4 v32, v30, src0_sel:BYTE_3
v_cvt_pk_fp8_f32 v29, v31, v32
v_lshrrev_b32 v33, 4, v30
v_cvt_off_f32_i4 v31, v33
v_cvt_off_f32_i4 v32, v33, src0_sel:BYTE_2
v_cvt_pk_fp8_f32 v28, v31, v32, op_sel:[0, 0, 1]
v_cvt_off_f32_i4 v31, v33, src0_sel:BYTE_1
v_cvt_off_f32_i4 v32, v33, src0_sel:BYTE_3
v_cvt_pk_fp8_f32 v29, v31, v32, op_sel:[0, 0, 1]

	;;#ASMEND
	s_nop 0
	v_mov_b32_e32 v32, v192
	;;#ASMSTART
	v_cvt_off_f32_i4 v33, v32
v_cvt_off_f32_i4 v34, v32, src0_sel:BYTE_2
v_cvt_pk_fp8_f32 v30, v33, v34
v_cvt_off_f32_i4 v33, v32, src0_sel:BYTE_1
v_cvt_off_f32_i4 v34, v32, src0_sel:BYTE_3
v_cvt_pk_fp8_f32 v31, v33, v34
v_lshrrev_b32 v35, 4, v32
v_cvt_off_f32_i4 v33, v35
v_cvt_off_f32_i4 v34, v35, src0_sel:BYTE_2
v_cvt_pk_fp8_f32 v30, v33, v34, op_sel:[0, 0, 1]
v_cvt_off_f32_i4 v33, v35, src0_sel:BYTE_1
v_cvt_off_f32_i4 v34, v35, src0_sel:BYTE_3
v_cvt_pk_fp8_f32 v31, v33, v34, op_sel:[0, 0, 1]

	;;#ASMEND
	s_nop 0
	v_mov_b32_e32 v34, v193
	;;#ASMSTART
	v_cvt_off_f32_i4 v35, v34
v_cvt_off_f32_i4 v36, v34, src0_sel:BYTE_2
v_cvt_pk_fp8_f32 v32, v35, v36
v_cvt_off_f32_i4 v35, v34, src0_sel:BYTE_1
v_cvt_off_f32_i4 v36, v34, src0_sel:BYTE_3
v_cvt_pk_fp8_f32 v33, v35, v36
v_lshrrev_b32 v37, 4, v34
v_cvt_off_f32_i4 v35, v37
v_cvt_off_f32_i4 v36, v37, src0_sel:BYTE_2
v_cvt_pk_fp8_f32 v32, v35, v36, op_sel:[0, 0, 1]
v_cvt_off_f32_i4 v35, v37, src0_sel:BYTE_1
v_cvt_off_f32_i4 v36, v37, src0_sel:BYTE_3
v_cvt_pk_fp8_f32 v33, v35, v36, op_sel:[0, 0, 1]

	;;#ASMEND
	s_nop 0
	v_mov_b32_e32 v36, v194
	;;#ASMSTART
	v_cvt_off_f32_i4 v37, v36
v_cvt_off_f32_i4 v38, v36, src0_sel:BYTE_2
v_cvt_pk_fp8_f32 v34, v37, v38
v_cvt_off_f32_i4 v37, v36, src0_sel:BYTE_1
v_cvt_off_f32_i4 v38, v36, src0_sel:BYTE_3
v_cvt_pk_fp8_f32 v35, v37, v38
v_lshrrev_b32 v39, 4, v36
v_cvt_off_f32_i4 v37, v39
v_cvt_off_f32_i4 v38, v39, src0_sel:BYTE_2
v_cvt_pk_fp8_f32 v34, v37, v38, op_sel:[0, 0, 1]
v_cvt_off_f32_i4 v37, v39, src0_sel:BYTE_1
v_cvt_off_f32_i4 v38, v39, src0_sel:BYTE_3
v_cvt_pk_fp8_f32 v35, v37, v38, op_sel:[0, 0, 1]

	;;#ASMEND
	s_nop 0
	v_mov_b32_e32 v38, v195
	;;#ASMSTART
	v_cvt_off_f32_i4 v39, v38
v_cvt_off_f32_i4 v48, v38, src0_sel:BYTE_2
v_cvt_pk_fp8_f32 v36, v39, v48
v_cvt_off_f32_i4 v39, v38, src0_sel:BYTE_1
v_cvt_off_f32_i4 v48, v38, src0_sel:BYTE_3
v_cvt_pk_fp8_f32 v37, v39, v48
v_lshrrev_b32 v49, 4, v38
v_cvt_off_f32_i4 v39, v49
v_cvt_off_f32_i4 v48, v49, src0_sel:BYTE_2
v_cvt_pk_fp8_f32 v36, v39, v48, op_sel:[0, 0, 1]
v_cvt_off_f32_i4 v39, v49, src0_sel:BYTE_1
v_cvt_off_f32_i4 v48, v49, src0_sel:BYTE_3
v_cvt_pk_fp8_f32 v37, v39, v48, op_sel:[0, 0, 1]

	;;#ASMEND
	s_nop 0
	v_mov_b32_e32 v38, v10
	;;#ASMSTART
	v_cvt_off_f32_i4 v39, v38
v_cvt_off_f32_i4 v50, v38, src0_sel:BYTE_2
v_cvt_pk_fp8_f32 v48, v39, v50
v_cvt_off_f32_i4 v39, v38, src0_sel:BYTE_1
v_cvt_off_f32_i4 v50, v38, src0_sel:BYTE_3
v_cvt_pk_fp8_f32 v49, v39, v50
v_lshrrev_b32 v51, 4, v38
v_cvt_off_f32_i4 v39, v51
v_cvt_off_f32_i4 v50, v51, src0_sel:BYTE_2
v_cvt_pk_fp8_f32 v48, v39, v50, op_sel:[0, 0, 1]
v_cvt_off_f32_i4 v39, v51, src0_sel:BYTE_1
v_cvt_off_f32_i4 v50, v51, src0_sel:BYTE_3
v_cvt_pk_fp8_f32 v49, v39, v50, op_sel:[0, 0, 1]

	;;#ASMEND
	s_nop 0
	v_mov_b32_e32 v38, v16
	;;#ASMSTART
	v_cvt_off_f32_i4 v39, v38
v_cvt_off_f32_i4 v52, v38, src0_sel:BYTE_2
v_cvt_pk_fp8_f32 v50, v39, v52
v_cvt_off_f32_i4 v39, v38, src0_sel:BYTE_1
v_cvt_off_f32_i4 v52, v38, src0_sel:BYTE_3
v_cvt_pk_fp8_f32 v51, v39, v52
v_lshrrev_b32 v53, 4, v38
v_cvt_off_f32_i4 v39, v53
v_cvt_off_f32_i4 v52, v53, src0_sel:BYTE_2
v_cvt_pk_fp8_f32 v50, v39, v52, op_sel:[0, 0, 1]
v_cvt_off_f32_i4 v39, v53, src0_sel:BYTE_1
v_cvt_off_f32_i4 v52, v53, src0_sel:BYTE_3
v_cvt_pk_fp8_f32 v51, v39, v52, op_sel:[0, 0, 1]

	;;#ASMEND
	s_nop 0
	v_mov_b32_e32 v38, v11
	;;#ASMSTART
	v_cvt_off_f32_i4 v39, v38
v_cvt_off_f32_i4 v54, v38, src0_sel:BYTE_2
v_cvt_pk_fp8_f32 v52, v39, v54
v_cvt_off_f32_i4 v39, v38, src0_sel:BYTE_1
v_cvt_off_f32_i4 v54, v38, src0_sel:BYTE_3
v_cvt_pk_fp8_f32 v53, v39, v54
v_lshrrev_b32 v55, 4, v38
v_cvt_off_f32_i4 v39, v55
v_cvt_off_f32_i4 v54, v55, src0_sel:BYTE_2
v_cvt_pk_fp8_f32 v52, v39, v54, op_sel:[0, 0, 1]
v_cvt_off_f32_i4 v39, v55, src0_sel:BYTE_1
v_cvt_off_f32_i4 v54, v55, src0_sel:BYTE_3
v_cvt_pk_fp8_f32 v53, v39, v54, op_sel:[0, 0, 1]

	;;#ASMEND
	s_nop 0
	v_mov_b32_e32 v38, v17
	;;#ASMSTART
	v_cvt_off_f32_i4 v39, v38
v_cvt_off_f32_i4 v64, v38, src0_sel:BYTE_2
v_cvt_pk_fp8_f32 v54, v39, v64
v_cvt_off_f32_i4 v39, v38, src0_sel:BYTE_1
v_cvt_off_f32_i4 v64, v38, src0_sel:BYTE_3
v_cvt_pk_fp8_f32 v55, v39, v64
v_lshrrev_b32 v65, 4, v38
v_cvt_off_f32_i4 v39, v65
v_cvt_off_f32_i4 v64, v65, src0_sel:BYTE_2
v_cvt_pk_fp8_f32 v54, v39, v64, op_sel:[0, 0, 1]
v_cvt_off_f32_i4 v39, v65, src0_sel:BYTE_1
v_cvt_off_f32_i4 v64, v65, src0_sel:BYTE_3
v_cvt_pk_fp8_f32 v55, v39, v64, op_sel:[0, 0, 1]

	;;#ASMEND
	s_nop 0
	v_mov_b32_e32 v38, v176
	;;#ASMSTART
	v_cvt_off_f32_i4 v39, v38
v_cvt_off_f32_i4 v66, v38, src0_sel:BYTE_2
v_cvt_pk_fp8_f32 v64, v39, v66
v_cvt_off_f32_i4 v39, v38, src0_sel:BYTE_1
v_cvt_off_f32_i4 v66, v38, src0_sel:BYTE_3
v_cvt_pk_fp8_f32 v65, v39, v66
v_lshrrev_b32 v67, 4, v38
v_cvt_off_f32_i4 v39, v67
v_cvt_off_f32_i4 v66, v67, src0_sel:BYTE_2
v_cvt_pk_fp8_f32 v64, v39, v66, op_sel:[0, 0, 1]
v_cvt_off_f32_i4 v39, v67, src0_sel:BYTE_1
v_cvt_off_f32_i4 v66, v67, src0_sel:BYTE_3
v_cvt_pk_fp8_f32 v65, v39, v66, op_sel:[0, 0, 1]

	;;#ASMEND
	s_nop 0
	v_mov_b32_e32 v38, v19
	;;#ASMSTART
	v_cvt_off_f32_i4 v39, v38
v_cvt_off_f32_i4 v68, v38, src0_sel:BYTE_2
v_cvt_pk_fp8_f32 v66, v39, v68
v_cvt_off_f32_i4 v39, v38, src0_sel:BYTE_1
v_cvt_off_f32_i4 v68, v38, src0_sel:BYTE_3
v_cvt_pk_fp8_f32 v67, v39, v68
v_lshrrev_b32 v69, 4, v38
v_cvt_off_f32_i4 v39, v69
v_cvt_off_f32_i4 v68, v69, src0_sel:BYTE_2
v_cvt_pk_fp8_f32 v66, v39, v68, op_sel:[0, 0, 1]
v_cvt_off_f32_i4 v39, v69, src0_sel:BYTE_1
v_cvt_off_f32_i4 v68, v69, src0_sel:BYTE_3
v_cvt_pk_fp8_f32 v67, v39, v68, op_sel:[0, 0, 1]

	;;#ASMEND
	s_nop 0
	v_mov_b32_e32 v38, v18
	;;#ASMSTART
	v_cvt_off_f32_i4 v39, v38
v_cvt_off_f32_i4 v70, v38, src0_sel:BYTE_2
v_cvt_pk_fp8_f32 v68, v39, v70
v_cvt_off_f32_i4 v39, v38, src0_sel:BYTE_1
v_cvt_off_f32_i4 v70, v38, src0_sel:BYTE_3
v_cvt_pk_fp8_f32 v69, v39, v70
v_lshrrev_b32 v71, 4, v38
v_cvt_off_f32_i4 v39, v71
v_cvt_off_f32_i4 v70, v71, src0_sel:BYTE_2
v_cvt_pk_fp8_f32 v68, v39, v70, op_sel:[0, 0, 1]
v_cvt_off_f32_i4 v39, v71, src0_sel:BYTE_1
v_cvt_off_f32_i4 v70, v71, src0_sel:BYTE_3
v_cvt_pk_fp8_f32 v69, v39, v70, op_sel:[0, 0, 1]

	;;#ASMEND
	s_nop 0
	v_mov_b32_e32 v38, v177
	;;#ASMSTART
	v_cvt_off_f32_i4 v39, v38
v_cvt_off_f32_i4 v80, v38, src0_sel:BYTE_2
v_cvt_pk_fp8_f32 v70, v39, v80
v_cvt_off_f32_i4 v39, v38, src0_sel:BYTE_1
v_cvt_off_f32_i4 v80, v38, src0_sel:BYTE_3
v_cvt_pk_fp8_f32 v71, v39, v80
v_lshrrev_b32 v81, 4, v38
v_cvt_off_f32_i4 v39, v81
v_cvt_off_f32_i4 v80, v81, src0_sel:BYTE_2
v_cvt_pk_fp8_f32 v70, v39, v80, op_sel:[0, 0, 1]
v_cvt_off_f32_i4 v39, v81, src0_sel:BYTE_1
v_cvt_off_f32_i4 v80, v81, src0_sel:BYTE_3
v_cvt_pk_fp8_f32 v71, v39, v80, op_sel:[0, 0, 1]

	;;#ASMEND
	s_nop 0
	v_mov_b32_e32 v38, v164
	;;#ASMSTART
	v_cvt_off_f32_i4 v39, v38
v_cvt_off_f32_i4 v82, v38, src0_sel:BYTE_2
v_cvt_pk_fp8_f32 v80, v39, v82
v_cvt_off_f32_i4 v39, v38, src0_sel:BYTE_1
v_cvt_off_f32_i4 v82, v38, src0_sel:BYTE_3
v_cvt_pk_fp8_f32 v81, v39, v82
v_lshrrev_b32 v83, 4, v38
v_cvt_off_f32_i4 v39, v83
v_cvt_off_f32_i4 v82, v83, src0_sel:BYTE_2
v_cvt_pk_fp8_f32 v80, v39, v82, op_sel:[0, 0, 1]
v_cvt_off_f32_i4 v39, v83, src0_sel:BYTE_1
v_cvt_off_f32_i4 v82, v83, src0_sel:BYTE_3
v_cvt_pk_fp8_f32 v81, v39, v82, op_sel:[0, 0, 1]

	;;#ASMEND
	s_nop 0
	v_mov_b32_e32 v38, v165
	;;#ASMSTART
	v_cvt_off_f32_i4 v39, v38
v_cvt_off_f32_i4 v84, v38, src0_sel:BYTE_2
v_cvt_pk_fp8_f32 v82, v39, v84
v_cvt_off_f32_i4 v39, v38, src0_sel:BYTE_1
v_cvt_off_f32_i4 v84, v38, src0_sel:BYTE_3
v_cvt_pk_fp8_f32 v83, v39, v84
v_lshrrev_b32 v85, 4, v38
v_cvt_off_f32_i4 v39, v85
v_cvt_off_f32_i4 v84, v85, src0_sel:BYTE_2
v_cvt_pk_fp8_f32 v82, v39, v84, op_sel:[0, 0, 1]
v_cvt_off_f32_i4 v39, v85, src0_sel:BYTE_1
v_cvt_off_f32_i4 v84, v85, src0_sel:BYTE_3
v_cvt_pk_fp8_f32 v83, v39, v84, op_sel:[0, 0, 1]

	;;#ASMEND
	s_nop 0
	v_mov_b32_e32 v38, v166
	;;#ASMSTART
	v_cvt_off_f32_i4 v39, v38
v_cvt_off_f32_i4 v86, v38, src0_sel:BYTE_2
v_cvt_pk_fp8_f32 v84, v39, v86
v_cvt_off_f32_i4 v39, v38, src0_sel:BYTE_1
v_cvt_off_f32_i4 v86, v38, src0_sel:BYTE_3
v_cvt_pk_fp8_f32 v85, v39, v86
v_lshrrev_b32 v87, 4, v38
v_cvt_off_f32_i4 v39, v87
v_cvt_off_f32_i4 v86, v87, src0_sel:BYTE_2
v_cvt_pk_fp8_f32 v84, v39, v86, op_sel:[0, 0, 1]
v_cvt_off_f32_i4 v39, v87, src0_sel:BYTE_1
v_cvt_off_f32_i4 v86, v87, src0_sel:BYTE_3
v_cvt_pk_fp8_f32 v85, v39, v86, op_sel:[0, 0, 1]

	;;#ASMEND
	s_nop 0
	v_mov_b32_e32 v38, v167
	;;#ASMSTART
	v_cvt_off_f32_i4 v39, v38
v_cvt_off_f32_i4 v96, v38, src0_sel:BYTE_2
v_cvt_pk_fp8_f32 v86, v39, v96
v_cvt_off_f32_i4 v39, v38, src0_sel:BYTE_1
v_cvt_off_f32_i4 v96, v38, src0_sel:BYTE_3
v_cvt_pk_fp8_f32 v87, v39, v96
v_lshrrev_b32 v97, 4, v38
v_cvt_off_f32_i4 v39, v97
v_cvt_off_f32_i4 v96, v97, src0_sel:BYTE_2
v_cvt_pk_fp8_f32 v86, v39, v96, op_sel:[0, 0, 1]
v_cvt_off_f32_i4 v39, v97, src0_sel:BYTE_1
v_cvt_off_f32_i4 v96, v97, src0_sel:BYTE_3
v_cvt_pk_fp8_f32 v87, v39, v96, op_sel:[0, 0, 1]

	;;#ASMEND
	s_nop 0
	v_mov_b32_e32 v38, v181
	;;#ASMSTART
	v_cvt_off_f32_i4 v39, v38
v_cvt_off_f32_i4 v98, v38, src0_sel:BYTE_2
v_cvt_pk_fp8_f32 v96, v39, v98
v_cvt_off_f32_i4 v39, v38, src0_sel:BYTE_1
v_cvt_off_f32_i4 v98, v38, src0_sel:BYTE_3
v_cvt_pk_fp8_f32 v97, v39, v98
v_lshrrev_b32 v99, 4, v38
v_cvt_off_f32_i4 v39, v99
v_cvt_off_f32_i4 v98, v99, src0_sel:BYTE_2
v_cvt_pk_fp8_f32 v96, v39, v98, op_sel:[0, 0, 1]
v_cvt_off_f32_i4 v39, v99, src0_sel:BYTE_1
v_cvt_off_f32_i4 v98, v99, src0_sel:BYTE_3
v_cvt_pk_fp8_f32 v97, v39, v98, op_sel:[0, 0, 1]

	;;#ASMEND
	s_nop 0
	v_mov_b32_e32 v38, v179
	;;#ASMSTART
	v_cvt_off_f32_i4 v39, v38
v_cvt_off_f32_i4 v100, v38, src0_sel:BYTE_2
v_cvt_pk_fp8_f32 v98, v39, v100
v_cvt_off_f32_i4 v39, v38, src0_sel:BYTE_1
v_cvt_off_f32_i4 v100, v38, src0_sel:BYTE_3
v_cvt_pk_fp8_f32 v99, v39, v100
v_lshrrev_b32 v101, 4, v38
v_cvt_off_f32_i4 v39, v101
v_cvt_off_f32_i4 v100, v101, src0_sel:BYTE_2
v_cvt_pk_fp8_f32 v98, v39, v100, op_sel:[0, 0, 1]
v_cvt_off_f32_i4 v39, v101, src0_sel:BYTE_1
v_cvt_off_f32_i4 v100, v101, src0_sel:BYTE_3
v_cvt_pk_fp8_f32 v99, v39, v100, op_sel:[0, 0, 1]

	;;#ASMEND
	s_nop 0
	v_mov_b32_e32 v38, v178
	;;#ASMSTART
	v_cvt_off_f32_i4 v39, v38
v_cvt_off_f32_i4 v102, v38, src0_sel:BYTE_2
v_cvt_pk_fp8_f32 v100, v39, v102
v_cvt_off_f32_i4 v39, v38, src0_sel:BYTE_1
v_cvt_off_f32_i4 v102, v38, src0_sel:BYTE_3
v_cvt_pk_fp8_f32 v101, v39, v102
v_lshrrev_b32 v103, 4, v38
v_cvt_off_f32_i4 v39, v103
v_cvt_off_f32_i4 v102, v103, src0_sel:BYTE_2
v_cvt_pk_fp8_f32 v100, v39, v102, op_sel:[0, 0, 1]
v_cvt_off_f32_i4 v39, v103, src0_sel:BYTE_1
v_cvt_off_f32_i4 v102, v103, src0_sel:BYTE_3
v_cvt_pk_fp8_f32 v101, v39, v102, op_sel:[0, 0, 1]

	;;#ASMEND
	s_nop 0
	v_mov_b32_e32 v38, v180
	;;#ASMSTART
	v_cvt_off_f32_i4 v39, v38
v_cvt_off_f32_i4 v112, v38, src0_sel:BYTE_2
v_cvt_pk_fp8_f32 v102, v39, v112
v_cvt_off_f32_i4 v39, v38, src0_sel:BYTE_1
v_cvt_off_f32_i4 v112, v38, src0_sel:BYTE_3
v_cvt_pk_fp8_f32 v103, v39, v112
v_lshrrev_b32 v113, 4, v38
v_cvt_off_f32_i4 v39, v113
v_cvt_off_f32_i4 v112, v113, src0_sel:BYTE_2
v_cvt_pk_fp8_f32 v102, v39, v112, op_sel:[0, 0, 1]
v_cvt_off_f32_i4 v39, v113, src0_sel:BYTE_1
v_cvt_off_f32_i4 v112, v113, src0_sel:BYTE_3
v_cvt_pk_fp8_f32 v103, v39, v112, op_sel:[0, 0, 1]

	;;#ASMEND
	s_nop 0
	v_mov_b32_e32 v38, v57
	;;#ASMSTART
	v_cvt_off_f32_i4 v39, v38
v_cvt_off_f32_i4 v114, v38, src0_sel:BYTE_2
v_cvt_pk_fp8_f32 v112, v39, v114
v_cvt_off_f32_i4 v39, v38, src0_sel:BYTE_1
v_cvt_off_f32_i4 v114, v38, src0_sel:BYTE_3
v_cvt_pk_fp8_f32 v113, v39, v114
v_lshrrev_b32 v115, 4, v38
v_cvt_off_f32_i4 v39, v115
v_cvt_off_f32_i4 v114, v115, src0_sel:BYTE_2
v_cvt_pk_fp8_f32 v112, v39, v114, op_sel:[0, 0, 1]
v_cvt_off_f32_i4 v39, v115, src0_sel:BYTE_1
v_cvt_off_f32_i4 v114, v115, src0_sel:BYTE_3
v_cvt_pk_fp8_f32 v113, v39, v114, op_sel:[0, 0, 1]

	;;#ASMEND
	s_nop 0
	v_mov_b32_e32 v38, v183
	;;#ASMSTART
	v_cvt_off_f32_i4 v39, v38
v_cvt_off_f32_i4 v116, v38, src0_sel:BYTE_2
v_cvt_pk_fp8_f32 v114, v39, v116
v_cvt_off_f32_i4 v39, v38, src0_sel:BYTE_1
v_cvt_off_f32_i4 v116, v38, src0_sel:BYTE_3
v_cvt_pk_fp8_f32 v115, v39, v116
v_lshrrev_b32 v117, 4, v38
v_cvt_off_f32_i4 v39, v117
v_cvt_off_f32_i4 v116, v117, src0_sel:BYTE_2
v_cvt_pk_fp8_f32 v114, v39, v116, op_sel:[0, 0, 1]
v_cvt_off_f32_i4 v39, v117, src0_sel:BYTE_1
v_cvt_off_f32_i4 v116, v117, src0_sel:BYTE_3
v_cvt_pk_fp8_f32 v115, v39, v116, op_sel:[0, 0, 1]

	;;#ASMEND
	s_nop 0
	v_mov_b32_e32 v38, v182
	;;#ASMSTART
	v_cvt_off_f32_i4 v39, v38
v_cvt_off_f32_i4 v118, v38, src0_sel:BYTE_2
v_cvt_pk_fp8_f32 v116, v39, v118
v_cvt_off_f32_i4 v39, v38, src0_sel:BYTE_1
v_cvt_off_f32_i4 v118, v38, src0_sel:BYTE_3
v_cvt_pk_fp8_f32 v117, v39, v118
v_lshrrev_b32 v119, 4, v38
v_cvt_off_f32_i4 v39, v119
v_cvt_off_f32_i4 v118, v119, src0_sel:BYTE_2
v_cvt_pk_fp8_f32 v116, v39, v118, op_sel:[0, 0, 1]
v_cvt_off_f32_i4 v39, v119, src0_sel:BYTE_1
v_cvt_off_f32_i4 v118, v119, src0_sel:BYTE_3
v_cvt_pk_fp8_f32 v117, v39, v118, op_sel:[0, 0, 1]

	;;#ASMEND
	s_nop 0
	v_mov_b32_e32 v38, v56
	;;#ASMSTART
	v_cvt_off_f32_i4 v39, v38
v_cvt_off_f32_i4 v128, v38, src0_sel:BYTE_2
v_cvt_pk_fp8_f32 v118, v39, v128
v_cvt_off_f32_i4 v39, v38, src0_sel:BYTE_1
v_cvt_off_f32_i4 v128, v38, src0_sel:BYTE_3
v_cvt_pk_fp8_f32 v119, v39, v128
v_lshrrev_b32 v129, 4, v38
v_cvt_off_f32_i4 v39, v129
v_cvt_off_f32_i4 v128, v129, src0_sel:BYTE_2
v_cvt_pk_fp8_f32 v118, v39, v128, op_sel:[0, 0, 1]
v_cvt_off_f32_i4 v39, v129, src0_sel:BYTE_1
v_cvt_off_f32_i4 v128, v129, src0_sel:BYTE_3
v_cvt_pk_fp8_f32 v119, v39, v128, op_sel:[0, 0, 1]

	;;#ASMEND
	s_nop 0
	v_mov_b32_e32 v38, v60
	;;#ASMSTART
	v_cvt_off_f32_i4 v39, v38
v_cvt_off_f32_i4 v130, v38, src0_sel:BYTE_2
v_cvt_pk_fp8_f32 v128, v39, v130
v_cvt_off_f32_i4 v39, v38, src0_sel:BYTE_1
v_cvt_off_f32_i4 v130, v38, src0_sel:BYTE_3
v_cvt_pk_fp8_f32 v129, v39, v130
v_lshrrev_b32 v131, 4, v38
v_cvt_off_f32_i4 v39, v131
v_cvt_off_f32_i4 v130, v131, src0_sel:BYTE_2
v_cvt_pk_fp8_f32 v128, v39, v130, op_sel:[0, 0, 1]
v_cvt_off_f32_i4 v39, v131, src0_sel:BYTE_1
v_cvt_off_f32_i4 v130, v131, src0_sel:BYTE_3
v_cvt_pk_fp8_f32 v129, v39, v130, op_sel:[0, 0, 1]

	;;#ASMEND
	s_nop 0
	v_mov_b32_e32 v38, v59
	;;#ASMSTART
	v_cvt_off_f32_i4 v39, v38
v_cvt_off_f32_i4 v132, v38, src0_sel:BYTE_2
v_cvt_pk_fp8_f32 v130, v39, v132
v_cvt_off_f32_i4 v39, v38, src0_sel:BYTE_1
v_cvt_off_f32_i4 v132, v38, src0_sel:BYTE_3
v_cvt_pk_fp8_f32 v131, v39, v132
v_lshrrev_b32 v133, 4, v38
v_cvt_off_f32_i4 v39, v133
v_cvt_off_f32_i4 v132, v133, src0_sel:BYTE_2
v_cvt_pk_fp8_f32 v130, v39, v132, op_sel:[0, 0, 1]
v_cvt_off_f32_i4 v39, v133, src0_sel:BYTE_1
v_cvt_off_f32_i4 v132, v133, src0_sel:BYTE_3
v_cvt_pk_fp8_f32 v131, v39, v132, op_sel:[0, 0, 1]

	;;#ASMEND
	s_nop 0
	v_mov_b32_e32 v38, v58
	;;#ASMSTART
	v_cvt_off_f32_i4 v39, v38
v_cvt_off_f32_i4 v134, v38, src0_sel:BYTE_2
v_cvt_pk_fp8_f32 v132, v39, v134
v_cvt_off_f32_i4 v39, v38, src0_sel:BYTE_1
v_cvt_off_f32_i4 v134, v38, src0_sel:BYTE_3
v_cvt_pk_fp8_f32 v133, v39, v134
v_lshrrev_b32 v135, 4, v38
v_cvt_off_f32_i4 v39, v135
v_cvt_off_f32_i4 v134, v135, src0_sel:BYTE_2
v_cvt_pk_fp8_f32 v132, v39, v134, op_sel:[0, 0, 1]
v_cvt_off_f32_i4 v39, v135, src0_sel:BYTE_1
v_cvt_off_f32_i4 v134, v135, src0_sel:BYTE_3
v_cvt_pk_fp8_f32 v133, v39, v134, op_sel:[0, 0, 1]

	;;#ASMEND
	s_nop 0
	v_mov_b32_e32 v38, v163
	;;#ASMSTART
	v_cvt_off_f32_i4 v39, v38
v_cvt_off_f32_i4 v144, v38, src0_sel:BYTE_2
v_cvt_pk_fp8_f32 v134, v39, v144
v_cvt_off_f32_i4 v39, v38, src0_sel:BYTE_1
v_cvt_off_f32_i4 v144, v38, src0_sel:BYTE_3
v_cvt_pk_fp8_f32 v135, v39, v144
v_lshrrev_b32 v145, 4, v38
v_cvt_off_f32_i4 v39, v145
v_cvt_off_f32_i4 v144, v145, src0_sel:BYTE_2
v_cvt_pk_fp8_f32 v134, v39, v144, op_sel:[0, 0, 1]
v_cvt_off_f32_i4 v39, v145, src0_sel:BYTE_1
v_cvt_off_f32_i4 v144, v145, src0_sel:BYTE_3
v_cvt_pk_fp8_f32 v135, v39, v144, op_sel:[0, 0, 1]

	;;#ASMEND
	; sched_barrier mask(0x00000000)
	flat_load_dwordx4 a[0:3], v[20:21] offset:384
	flat_load_dwordx4 a[4:7], v[20:21] offset:400
	;; [unrolled: 1-line block ×8, first 2 shown]
	s_waitcnt vmcnt(0) lgkmcnt(0)
	v_mfma_f32_16x16x128_f8f6f4 a[0:3], v[88:95], v[22:29], a[0:3]
	s_nop 11
	flat_store_dwordx4 v[20:21], a[0:3] offset:384
	v_mfma_f32_16x16x128_f8f6f4 a[4:7], v[88:95], v[30:37], a[4:7]
	v_mfma_f32_16x16x128_f8f6f4 a[8:11], v[88:95], v[48:55], a[8:11]
	s_nop 10
	flat_store_dwordx4 v[20:21], a[4:7] offset:400
	v_mfma_f32_16x16x128_f8f6f4 a[12:15], v[88:95], v[64:71], a[12:15]
	; sched_group_barrier mask(0x00000008) size(4) SyncID(0)
	; sched_group_barrier mask(0x00000100) size(1) SyncID(0)
	flat_store_dwordx4 v[20:21], a[8:11] offset:416
	v_mfma_f32_16x16x128_f8f6f4 a[16:19], v[88:95], v[80:87], a[16:19]
	s_nop 9
	flat_store_dwordx4 v[20:21], a[12:15] offset:432
	v_mfma_f32_16x16x128_f8f6f4 a[20:23], v[88:95], v[96:103], a[20:23]
	flat_store_dwordx4 v[20:21], a[16:19] offset:448
	v_mfma_f32_16x16x128_f8f6f4 a[24:27], v[88:95], v[112:119], a[24:27]
	s_nop 9
	flat_store_dwordx4 v[20:21], a[20:23] offset:464
	v_mfma_f32_16x16x128_f8f6f4 a[28:31], v[88:95], v[128:135], a[28:31]
	; sched_group_barrier mask(0x00000008) size(4) SyncID(0)
	; sched_group_barrier mask(0x00000100) size(1) SyncID(0)
	flat_store_dwordx4 v[20:21], a[24:27] offset:480
	s_nop 10
	flat_store_dwordx4 v[20:21], a[28:31] offset:496
	flat_load_dwordx2 v[30:31], v[0:1] offset:1148
	flat_load_dwordx2 v[32:33], v[0:1] offset:1164
	flat_load_dwordx4 v[22:25], v[0:1] offset:1176
	flat_load_dwordx3 v[26:28], v[0:1] offset:1132
	flat_load_dwordx2 v[34:35], v[8:9]
	s_waitcnt vmcnt(0) lgkmcnt(0)
	v_sub_u32_e32 v29, v30, v33
	v_add_u32_e32 v25, 16, v25
	v_add_u32_e32 v22, v32, v22
	v_add3_u32 v23, v29, v23, s20
	v_sub_u32_e32 v30, v31, v32
	v_ashrrev_i32_e32 v29, 31, v25
	v_sub_u32_e32 v22, v31, v22
	v_ashrrev_i32_e32 v31, 31, v23
	v_sub_u32_e32 v28, v23, v28
	v_lshrrev_b32_e32 v29, 28, v29
	v_lshrrev_b32_e32 v31, 29, v31
	v_lshl_add_u32 v26, v28, 7, v26
	v_add_u32_e32 v28, v25, v29
	v_add_u32_e32 v29, v23, v31
	v_lshrrev_b32_e32 v31, 4, v28
	v_and_b32_e32 v29, -8, v29
	v_and_b32_e32 v28, -16, v28
	v_add_u32_e32 v22, v22, v31
	v_sub_u32_e32 v23, v23, v29
	v_sub_u32_e32 v25, v25, v28
	v_xor_b32_e32 v28, v23, v30
	v_xor_b32_e32 v22, v22, v23
	v_sub_u32_e32 v23, v28, v27
	v_sub_u32_e32 v27, v22, v27
	;; [unrolled: 1-line block ×3, first 2 shown]
	v_lshl_add_u32 v22, v23, 4, v26
	v_lshlrev_b32_e32 v26, 4, v27
	v_ashrrev_i32_e32 v23, 31, v22
	v_add3_u32 v24, v24, v25, v26
	v_lshl_add_u64 v[22:23], v[34:35], 0, v[22:23]
	v_ashrrev_i32_e32 v25, 31, v24
	flat_load_dwordx4 v[88:91], v[22:23]
	v_lshl_add_u64 v[22:23], v[34:35], 0, v[24:25]
	flat_load_dwordx4 v[92:95], v[22:23]
	v_mov_b32_e32 v24, v196
	;;#ASMSTART
	v_cvt_off_f32_i4 v25, v24
v_cvt_off_f32_i4 v26, v24, src0_sel:BYTE_2
v_cvt_pk_fp8_f32 v22, v25, v26
v_cvt_off_f32_i4 v25, v24, src0_sel:BYTE_1
v_cvt_off_f32_i4 v26, v24, src0_sel:BYTE_3
v_cvt_pk_fp8_f32 v23, v25, v26
v_lshrrev_b32 v27, 4, v24
v_cvt_off_f32_i4 v25, v27
v_cvt_off_f32_i4 v26, v27, src0_sel:BYTE_2
v_cvt_pk_fp8_f32 v22, v25, v26, op_sel:[0, 0, 1]
v_cvt_off_f32_i4 v25, v27, src0_sel:BYTE_1
v_cvt_off_f32_i4 v26, v27, src0_sel:BYTE_3
v_cvt_pk_fp8_f32 v23, v25, v26, op_sel:[0, 0, 1]

	;;#ASMEND
	s_nop 0
	v_mov_b32_e32 v26, v197
	;;#ASMSTART
	v_cvt_off_f32_i4 v27, v26
v_cvt_off_f32_i4 v28, v26, src0_sel:BYTE_2
v_cvt_pk_fp8_f32 v24, v27, v28
v_cvt_off_f32_i4 v27, v26, src0_sel:BYTE_1
v_cvt_off_f32_i4 v28, v26, src0_sel:BYTE_3
v_cvt_pk_fp8_f32 v25, v27, v28
v_lshrrev_b32 v29, 4, v26
v_cvt_off_f32_i4 v27, v29
v_cvt_off_f32_i4 v28, v29, src0_sel:BYTE_2
v_cvt_pk_fp8_f32 v24, v27, v28, op_sel:[0, 0, 1]
v_cvt_off_f32_i4 v27, v29, src0_sel:BYTE_1
v_cvt_off_f32_i4 v28, v29, src0_sel:BYTE_3
v_cvt_pk_fp8_f32 v25, v27, v28, op_sel:[0, 0, 1]

	;;#ASMEND
	s_nop 0
	;; [unrolled: 18-line block ×31, first 2 shown]
	v_mov_b32_e32 v38, v163
	;;#ASMSTART
	v_cvt_off_f32_i4 v39, v38
v_cvt_off_f32_i4 v144, v38, src0_sel:BYTE_2
v_cvt_pk_fp8_f32 v134, v39, v144
v_cvt_off_f32_i4 v39, v38, src0_sel:BYTE_1
v_cvt_off_f32_i4 v144, v38, src0_sel:BYTE_3
v_cvt_pk_fp8_f32 v135, v39, v144
v_lshrrev_b32 v145, 4, v38
v_cvt_off_f32_i4 v39, v145
v_cvt_off_f32_i4 v144, v145, src0_sel:BYTE_2
v_cvt_pk_fp8_f32 v134, v39, v144, op_sel:[0, 0, 1]
v_cvt_off_f32_i4 v39, v145, src0_sel:BYTE_1
v_cvt_off_f32_i4 v144, v145, src0_sel:BYTE_3
v_cvt_pk_fp8_f32 v135, v39, v144, op_sel:[0, 0, 1]

	;;#ASMEND
	; sched_barrier mask(0x00000000)
	flat_load_dwordx4 a[0:3], v[20:21] offset:512
	flat_load_dwordx4 a[4:7], v[20:21] offset:528
	flat_load_dwordx4 a[8:11], v[20:21] offset:544
	flat_load_dwordx4 a[12:15], v[20:21] offset:560
	flat_load_dwordx4 a[16:19], v[20:21] offset:576
	flat_load_dwordx4 a[20:23], v[20:21] offset:592
	flat_load_dwordx4 a[24:27], v[20:21] offset:608
	flat_load_dwordx4 a[28:31], v[20:21] offset:624
	s_waitcnt vmcnt(0) lgkmcnt(0)
	v_mfma_f32_16x16x128_f8f6f4 a[0:3], v[88:95], v[22:29], a[0:3]
	s_nop 11
	flat_store_dwordx4 v[20:21], a[0:3] offset:512
	v_mfma_f32_16x16x128_f8f6f4 a[4:7], v[88:95], v[30:37], a[4:7]
	v_mfma_f32_16x16x128_f8f6f4 a[8:11], v[88:95], v[48:55], a[8:11]
	s_nop 10
	flat_store_dwordx4 v[20:21], a[4:7] offset:528
	v_mfma_f32_16x16x128_f8f6f4 a[12:15], v[88:95], v[64:71], a[12:15]
	; sched_group_barrier mask(0x00000008) size(4) SyncID(0)
	; sched_group_barrier mask(0x00000100) size(1) SyncID(0)
	flat_store_dwordx4 v[20:21], a[8:11] offset:544
	v_mfma_f32_16x16x128_f8f6f4 a[16:19], v[88:95], v[80:87], a[16:19]
	s_nop 9
	flat_store_dwordx4 v[20:21], a[12:15] offset:560
	v_mfma_f32_16x16x128_f8f6f4 a[20:23], v[88:95], v[96:103], a[20:23]
	flat_store_dwordx4 v[20:21], a[16:19] offset:576
	v_mfma_f32_16x16x128_f8f6f4 a[24:27], v[88:95], v[112:119], a[24:27]
	s_nop 9
	flat_store_dwordx4 v[20:21], a[20:23] offset:592
	v_mfma_f32_16x16x128_f8f6f4 a[28:31], v[88:95], v[128:135], a[28:31]
	; sched_group_barrier mask(0x00000008) size(4) SyncID(0)
	; sched_group_barrier mask(0x00000100) size(1) SyncID(0)
	flat_store_dwordx4 v[20:21], a[24:27] offset:608
	s_nop 10
	flat_store_dwordx4 v[20:21], a[28:31] offset:624
	flat_load_dwordx2 v[30:31], v[0:1] offset:1148
	flat_load_dwordx2 v[32:33], v[0:1] offset:1164
	flat_load_dwordx4 v[22:25], v[0:1] offset:1176
	flat_load_dwordx3 v[26:28], v[0:1] offset:1132
	flat_load_dwordx2 v[34:35], v[8:9]
	s_waitcnt vmcnt(0) lgkmcnt(0)
	v_sub_u32_e32 v29, v30, v33
	v_add_u32_e32 v25, 16, v25
	v_add_u32_e32 v22, v32, v22
	v_add3_u32 v23, v29, v23, s21
	v_sub_u32_e32 v30, v31, v32
	v_ashrrev_i32_e32 v29, 31, v25
	v_sub_u32_e32 v22, v31, v22
	v_ashrrev_i32_e32 v31, 31, v23
	v_sub_u32_e32 v28, v23, v28
	v_lshrrev_b32_e32 v29, 28, v29
	v_lshrrev_b32_e32 v31, 29, v31
	v_lshl_add_u32 v26, v28, 7, v26
	v_add_u32_e32 v28, v25, v29
	v_add_u32_e32 v29, v23, v31
	v_lshrrev_b32_e32 v31, 4, v28
	v_and_b32_e32 v29, -8, v29
	v_and_b32_e32 v28, -16, v28
	v_add_u32_e32 v22, v22, v31
	v_sub_u32_e32 v23, v23, v29
	v_sub_u32_e32 v25, v25, v28
	v_xor_b32_e32 v28, v23, v30
	v_xor_b32_e32 v22, v22, v23
	v_sub_u32_e32 v23, v28, v27
	v_sub_u32_e32 v27, v22, v27
	;; [unrolled: 1-line block ×3, first 2 shown]
	v_lshl_add_u32 v22, v23, 4, v26
	v_lshlrev_b32_e32 v26, 4, v27
	v_ashrrev_i32_e32 v23, 31, v22
	v_add3_u32 v24, v24, v25, v26
	v_lshl_add_u64 v[22:23], v[34:35], 0, v[22:23]
	v_ashrrev_i32_e32 v25, 31, v24
	flat_load_dwordx4 v[88:91], v[22:23]
	v_lshl_add_u64 v[22:23], v[34:35], 0, v[24:25]
	flat_load_dwordx4 v[92:95], v[22:23]
	v_mov_b32_e32 v24, v196
	;;#ASMSTART
	v_cvt_off_f32_i4 v25, v24
v_cvt_off_f32_i4 v26, v24, src0_sel:BYTE_2
v_cvt_pk_fp8_f32 v22, v25, v26
v_cvt_off_f32_i4 v25, v24, src0_sel:BYTE_1
v_cvt_off_f32_i4 v26, v24, src0_sel:BYTE_3
v_cvt_pk_fp8_f32 v23, v25, v26
v_lshrrev_b32 v27, 4, v24
v_cvt_off_f32_i4 v25, v27
v_cvt_off_f32_i4 v26, v27, src0_sel:BYTE_2
v_cvt_pk_fp8_f32 v22, v25, v26, op_sel:[0, 0, 1]
v_cvt_off_f32_i4 v25, v27, src0_sel:BYTE_1
v_cvt_off_f32_i4 v26, v27, src0_sel:BYTE_3
v_cvt_pk_fp8_f32 v23, v25, v26, op_sel:[0, 0, 1]

	;;#ASMEND
	s_nop 0
	v_mov_b32_e32 v26, v197
	;;#ASMSTART
	v_cvt_off_f32_i4 v27, v26
v_cvt_off_f32_i4 v28, v26, src0_sel:BYTE_2
v_cvt_pk_fp8_f32 v24, v27, v28
v_cvt_off_f32_i4 v27, v26, src0_sel:BYTE_1
v_cvt_off_f32_i4 v28, v26, src0_sel:BYTE_3
v_cvt_pk_fp8_f32 v25, v27, v28
v_lshrrev_b32 v29, 4, v26
v_cvt_off_f32_i4 v27, v29
v_cvt_off_f32_i4 v28, v29, src0_sel:BYTE_2
v_cvt_pk_fp8_f32 v24, v27, v28, op_sel:[0, 0, 1]
v_cvt_off_f32_i4 v27, v29, src0_sel:BYTE_1
v_cvt_off_f32_i4 v28, v29, src0_sel:BYTE_3
v_cvt_pk_fp8_f32 v25, v27, v28, op_sel:[0, 0, 1]

	;;#ASMEND
	s_nop 0
	;; [unrolled: 18-line block ×31, first 2 shown]
	v_mov_b32_e32 v38, v163
	;;#ASMSTART
	v_cvt_off_f32_i4 v39, v38
v_cvt_off_f32_i4 v144, v38, src0_sel:BYTE_2
v_cvt_pk_fp8_f32 v134, v39, v144
v_cvt_off_f32_i4 v39, v38, src0_sel:BYTE_1
v_cvt_off_f32_i4 v144, v38, src0_sel:BYTE_3
v_cvt_pk_fp8_f32 v135, v39, v144
v_lshrrev_b32 v145, 4, v38
v_cvt_off_f32_i4 v39, v145
v_cvt_off_f32_i4 v144, v145, src0_sel:BYTE_2
v_cvt_pk_fp8_f32 v134, v39, v144, op_sel:[0, 0, 1]
v_cvt_off_f32_i4 v39, v145, src0_sel:BYTE_1
v_cvt_off_f32_i4 v144, v145, src0_sel:BYTE_3
v_cvt_pk_fp8_f32 v135, v39, v144, op_sel:[0, 0, 1]

	;;#ASMEND
	; sched_barrier mask(0x00000000)
	flat_load_dwordx4 a[0:3], v[20:21] offset:640
	flat_load_dwordx4 a[4:7], v[20:21] offset:656
	;; [unrolled: 1-line block ×8, first 2 shown]
	s_waitcnt vmcnt(0) lgkmcnt(0)
	v_mfma_f32_16x16x128_f8f6f4 a[0:3], v[88:95], v[22:29], a[0:3]
	s_nop 11
	flat_store_dwordx4 v[20:21], a[0:3] offset:640
	v_mfma_f32_16x16x128_f8f6f4 a[4:7], v[88:95], v[30:37], a[4:7]
	v_mfma_f32_16x16x128_f8f6f4 a[8:11], v[88:95], v[48:55], a[8:11]
	s_nop 10
	flat_store_dwordx4 v[20:21], a[4:7] offset:656
	v_mfma_f32_16x16x128_f8f6f4 a[12:15], v[88:95], v[64:71], a[12:15]
	; sched_group_barrier mask(0x00000008) size(4) SyncID(0)
	; sched_group_barrier mask(0x00000100) size(1) SyncID(0)
	flat_store_dwordx4 v[20:21], a[8:11] offset:672
	v_mfma_f32_16x16x128_f8f6f4 a[16:19], v[88:95], v[80:87], a[16:19]
	s_nop 9
	flat_store_dwordx4 v[20:21], a[12:15] offset:688
	v_mfma_f32_16x16x128_f8f6f4 a[20:23], v[88:95], v[96:103], a[20:23]
	flat_store_dwordx4 v[20:21], a[16:19] offset:704
	v_mfma_f32_16x16x128_f8f6f4 a[24:27], v[88:95], v[112:119], a[24:27]
	s_nop 9
	flat_store_dwordx4 v[20:21], a[20:23] offset:720
	v_mfma_f32_16x16x128_f8f6f4 a[28:31], v[88:95], v[128:135], a[28:31]
	; sched_group_barrier mask(0x00000008) size(4) SyncID(0)
	; sched_group_barrier mask(0x00000100) size(1) SyncID(0)
	flat_store_dwordx4 v[20:21], a[24:27] offset:736
	s_nop 10
	flat_store_dwordx4 v[20:21], a[28:31] offset:752
	flat_load_dwordx2 v[30:31], v[0:1] offset:1148
	flat_load_dwordx2 v[32:33], v[0:1] offset:1164
	flat_load_dwordx4 v[22:25], v[0:1] offset:1176
	flat_load_dwordx3 v[26:28], v[0:1] offset:1132
	flat_load_dwordx2 v[34:35], v[8:9]
	s_waitcnt vmcnt(0) lgkmcnt(0)
	v_sub_u32_e32 v29, v30, v33
	v_add_u32_e32 v25, 16, v25
	v_add_u32_e32 v22, v32, v22
	v_add3_u32 v23, v29, v23, s22
	v_sub_u32_e32 v30, v31, v32
	v_ashrrev_i32_e32 v29, 31, v25
	v_sub_u32_e32 v22, v31, v22
	v_ashrrev_i32_e32 v31, 31, v23
	v_sub_u32_e32 v28, v23, v28
	v_lshrrev_b32_e32 v29, 28, v29
	v_lshrrev_b32_e32 v31, 29, v31
	v_lshl_add_u32 v26, v28, 7, v26
	v_add_u32_e32 v28, v25, v29
	v_add_u32_e32 v29, v23, v31
	v_lshrrev_b32_e32 v31, 4, v28
	v_and_b32_e32 v29, -8, v29
	v_and_b32_e32 v28, -16, v28
	v_add_u32_e32 v22, v22, v31
	v_sub_u32_e32 v23, v23, v29
	v_sub_u32_e32 v25, v25, v28
	v_xor_b32_e32 v28, v23, v30
	v_xor_b32_e32 v22, v22, v23
	v_sub_u32_e32 v23, v28, v27
	v_sub_u32_e32 v27, v22, v27
	;; [unrolled: 1-line block ×3, first 2 shown]
	v_lshl_add_u32 v22, v23, 4, v26
	v_lshlrev_b32_e32 v26, 4, v27
	v_ashrrev_i32_e32 v23, 31, v22
	v_add3_u32 v24, v24, v25, v26
	v_lshl_add_u64 v[22:23], v[34:35], 0, v[22:23]
	v_ashrrev_i32_e32 v25, 31, v24
	flat_load_dwordx4 v[88:91], v[22:23]
	v_lshl_add_u64 v[22:23], v[34:35], 0, v[24:25]
	flat_load_dwordx4 v[92:95], v[22:23]
	v_mov_b32_e32 v24, v196
	;;#ASMSTART
	v_cvt_off_f32_i4 v25, v24
v_cvt_off_f32_i4 v26, v24, src0_sel:BYTE_2
v_cvt_pk_fp8_f32 v22, v25, v26
v_cvt_off_f32_i4 v25, v24, src0_sel:BYTE_1
v_cvt_off_f32_i4 v26, v24, src0_sel:BYTE_3
v_cvt_pk_fp8_f32 v23, v25, v26
v_lshrrev_b32 v27, 4, v24
v_cvt_off_f32_i4 v25, v27
v_cvt_off_f32_i4 v26, v27, src0_sel:BYTE_2
v_cvt_pk_fp8_f32 v22, v25, v26, op_sel:[0, 0, 1]
v_cvt_off_f32_i4 v25, v27, src0_sel:BYTE_1
v_cvt_off_f32_i4 v26, v27, src0_sel:BYTE_3
v_cvt_pk_fp8_f32 v23, v25, v26, op_sel:[0, 0, 1]

	;;#ASMEND
	s_nop 0
	v_mov_b32_e32 v26, v197
	;;#ASMSTART
	v_cvt_off_f32_i4 v27, v26
v_cvt_off_f32_i4 v28, v26, src0_sel:BYTE_2
v_cvt_pk_fp8_f32 v24, v27, v28
v_cvt_off_f32_i4 v27, v26, src0_sel:BYTE_1
v_cvt_off_f32_i4 v28, v26, src0_sel:BYTE_3
v_cvt_pk_fp8_f32 v25, v27, v28
v_lshrrev_b32 v29, 4, v26
v_cvt_off_f32_i4 v27, v29
v_cvt_off_f32_i4 v28, v29, src0_sel:BYTE_2
v_cvt_pk_fp8_f32 v24, v27, v28, op_sel:[0, 0, 1]
v_cvt_off_f32_i4 v27, v29, src0_sel:BYTE_1
v_cvt_off_f32_i4 v28, v29, src0_sel:BYTE_3
v_cvt_pk_fp8_f32 v25, v27, v28, op_sel:[0, 0, 1]

	;;#ASMEND
	s_nop 0
	;; [unrolled: 18-line block ×31, first 2 shown]
	v_mov_b32_e32 v38, v163
	;;#ASMSTART
	v_cvt_off_f32_i4 v39, v38
v_cvt_off_f32_i4 v144, v38, src0_sel:BYTE_2
v_cvt_pk_fp8_f32 v134, v39, v144
v_cvt_off_f32_i4 v39, v38, src0_sel:BYTE_1
v_cvt_off_f32_i4 v144, v38, src0_sel:BYTE_3
v_cvt_pk_fp8_f32 v135, v39, v144
v_lshrrev_b32 v145, 4, v38
v_cvt_off_f32_i4 v39, v145
v_cvt_off_f32_i4 v144, v145, src0_sel:BYTE_2
v_cvt_pk_fp8_f32 v134, v39, v144, op_sel:[0, 0, 1]
v_cvt_off_f32_i4 v39, v145, src0_sel:BYTE_1
v_cvt_off_f32_i4 v144, v145, src0_sel:BYTE_3
v_cvt_pk_fp8_f32 v135, v39, v144, op_sel:[0, 0, 1]

	;;#ASMEND
	; sched_barrier mask(0x00000000)
	flat_load_dwordx4 a[0:3], v[20:21] offset:768
	flat_load_dwordx4 a[4:7], v[20:21] offset:784
	;; [unrolled: 1-line block ×8, first 2 shown]
	s_waitcnt vmcnt(0) lgkmcnt(0)
	v_mfma_f32_16x16x128_f8f6f4 a[0:3], v[88:95], v[22:29], a[0:3]
	s_nop 11
	flat_store_dwordx4 v[20:21], a[0:3] offset:768
	v_mfma_f32_16x16x128_f8f6f4 a[4:7], v[88:95], v[30:37], a[4:7]
	v_mfma_f32_16x16x128_f8f6f4 a[8:11], v[88:95], v[48:55], a[8:11]
	s_nop 10
	flat_store_dwordx4 v[20:21], a[4:7] offset:784
	v_mfma_f32_16x16x128_f8f6f4 a[12:15], v[88:95], v[64:71], a[12:15]
	; sched_group_barrier mask(0x00000008) size(4) SyncID(0)
	; sched_group_barrier mask(0x00000100) size(1) SyncID(0)
	flat_store_dwordx4 v[20:21], a[8:11] offset:800
	v_mfma_f32_16x16x128_f8f6f4 a[16:19], v[88:95], v[80:87], a[16:19]
	s_nop 9
	flat_store_dwordx4 v[20:21], a[12:15] offset:816
	v_mfma_f32_16x16x128_f8f6f4 a[20:23], v[88:95], v[96:103], a[20:23]
	flat_store_dwordx4 v[20:21], a[16:19] offset:832
	v_mfma_f32_16x16x128_f8f6f4 a[24:27], v[88:95], v[112:119], a[24:27]
	s_nop 9
	flat_store_dwordx4 v[20:21], a[20:23] offset:848
	v_mfma_f32_16x16x128_f8f6f4 a[28:31], v[88:95], v[128:135], a[28:31]
	; sched_group_barrier mask(0x00000008) size(4) SyncID(0)
	; sched_group_barrier mask(0x00000100) size(1) SyncID(0)
	flat_store_dwordx4 v[20:21], a[24:27] offset:864
	s_nop 10
	flat_store_dwordx4 v[20:21], a[28:31] offset:880
	flat_load_dwordx2 v[30:31], v[0:1] offset:1148
	flat_load_dwordx2 v[32:33], v[0:1] offset:1164
	flat_load_dwordx4 v[22:25], v[0:1] offset:1176
	flat_load_dwordx3 v[26:28], v[0:1] offset:1132
	flat_load_dwordx2 v[34:35], v[8:9]
	s_waitcnt vmcnt(0) lgkmcnt(0)
	v_sub_u32_e32 v29, v30, v33
	v_add_u32_e32 v25, 16, v25
	v_add_u32_e32 v22, v32, v22
	v_add3_u32 v23, v29, v23, s23
	v_sub_u32_e32 v30, v31, v32
	v_ashrrev_i32_e32 v29, 31, v25
	v_sub_u32_e32 v22, v31, v22
	v_ashrrev_i32_e32 v31, 31, v23
	v_sub_u32_e32 v28, v23, v28
	v_lshrrev_b32_e32 v29, 28, v29
	v_lshrrev_b32_e32 v31, 29, v31
	v_lshl_add_u32 v26, v28, 7, v26
	v_add_u32_e32 v28, v25, v29
	v_add_u32_e32 v29, v23, v31
	v_lshrrev_b32_e32 v31, 4, v28
	v_and_b32_e32 v29, -8, v29
	v_and_b32_e32 v28, -16, v28
	v_add_u32_e32 v22, v22, v31
	v_sub_u32_e32 v23, v23, v29
	v_sub_u32_e32 v25, v25, v28
	v_xor_b32_e32 v28, v23, v30
	v_xor_b32_e32 v22, v22, v23
	v_sub_u32_e32 v23, v28, v27
	v_sub_u32_e32 v27, v22, v27
	;; [unrolled: 1-line block ×3, first 2 shown]
	v_lshl_add_u32 v22, v23, 4, v26
	v_lshlrev_b32_e32 v26, 4, v27
	v_ashrrev_i32_e32 v23, 31, v22
	v_add3_u32 v24, v24, v25, v26
	v_lshl_add_u64 v[22:23], v[34:35], 0, v[22:23]
	v_ashrrev_i32_e32 v25, 31, v24
	flat_load_dwordx4 v[144:147], v[22:23]
	v_lshl_add_u64 v[22:23], v[34:35], 0, v[24:25]
	flat_load_dwordx4 v[148:151], v[22:23]
	;;#ASMSTART
	v_cvt_off_f32_i4 v24, v196
v_cvt_off_f32_i4 v25, v196, src0_sel:BYTE_2
v_cvt_pk_fp8_f32 v22, v24, v25
v_cvt_off_f32_i4 v24, v196, src0_sel:BYTE_1
v_cvt_off_f32_i4 v25, v196, src0_sel:BYTE_3
v_cvt_pk_fp8_f32 v23, v24, v25
v_lshrrev_b32 v26, 4, v196
v_cvt_off_f32_i4 v24, v26
v_cvt_off_f32_i4 v25, v26, src0_sel:BYTE_2
v_cvt_pk_fp8_f32 v22, v24, v25, op_sel:[0, 0, 1]
v_cvt_off_f32_i4 v24, v26, src0_sel:BYTE_1
v_cvt_off_f32_i4 v25, v26, src0_sel:BYTE_3
v_cvt_pk_fp8_f32 v23, v24, v25, op_sel:[0, 0, 1]

	;;#ASMEND
	s_nop 0
	;;#ASMSTART
	v_cvt_off_f32_i4 v26, v197
v_cvt_off_f32_i4 v27, v197, src0_sel:BYTE_2
v_cvt_pk_fp8_f32 v24, v26, v27
v_cvt_off_f32_i4 v26, v197, src0_sel:BYTE_1
v_cvt_off_f32_i4 v27, v197, src0_sel:BYTE_3
v_cvt_pk_fp8_f32 v25, v26, v27
v_lshrrev_b32 v28, 4, v197
v_cvt_off_f32_i4 v26, v28
v_cvt_off_f32_i4 v27, v28, src0_sel:BYTE_2
v_cvt_pk_fp8_f32 v24, v26, v27, op_sel:[0, 0, 1]
v_cvt_off_f32_i4 v26, v28, src0_sel:BYTE_1
v_cvt_off_f32_i4 v27, v28, src0_sel:BYTE_3
v_cvt_pk_fp8_f32 v25, v26, v27, op_sel:[0, 0, 1]

	;;#ASMEND
	s_nop 0
	;; [unrolled: 17-line block ×31, first 2 shown]
	;;#ASMSTART
	v_cvt_off_f32_i4 v10, v163
v_cvt_off_f32_i4 v11, v163, src0_sel:BYTE_2
v_cvt_pk_fp8_f32 v134, v10, v11
v_cvt_off_f32_i4 v10, v163, src0_sel:BYTE_1
v_cvt_off_f32_i4 v11, v163, src0_sel:BYTE_3
v_cvt_pk_fp8_f32 v135, v10, v11
v_lshrrev_b32 v16, 4, v163
v_cvt_off_f32_i4 v10, v16
v_cvt_off_f32_i4 v11, v16, src0_sel:BYTE_2
v_cvt_pk_fp8_f32 v134, v10, v11, op_sel:[0, 0, 1]
v_cvt_off_f32_i4 v10, v16, src0_sel:BYTE_1
v_cvt_off_f32_i4 v11, v16, src0_sel:BYTE_3
v_cvt_pk_fp8_f32 v135, v10, v11, op_sel:[0, 0, 1]

	;;#ASMEND
	; sched_barrier mask(0x00000000)
	flat_load_dwordx4 a[0:3], v[20:21] offset:896
	flat_load_dwordx4 a[4:7], v[20:21] offset:912
	;; [unrolled: 1-line block ×8, first 2 shown]
	v_perm_b32 v211, v211, v211, s16
	v_perm_b32 v215, v215, v215, s16
	;; [unrolled: 1-line block ×8, first 2 shown]
	s_waitcnt vmcnt(0) lgkmcnt(0)
	v_mfma_f32_16x16x128_f8f6f4 a[0:3], v[144:151], v[22:29], a[0:3]
	s_nop 11
	flat_store_dwordx4 v[20:21], a[0:3] offset:896
	v_mfma_f32_16x16x128_f8f6f4 a[4:7], v[144:151], v[30:37], a[4:7]
	v_mfma_f32_16x16x128_f8f6f4 a[8:11], v[144:151], v[48:55], a[8:11]
	s_nop 10
	flat_store_dwordx4 v[20:21], a[4:7] offset:912
	v_mfma_f32_16x16x128_f8f6f4 a[12:15], v[144:151], v[64:71], a[12:15]
	; sched_group_barrier mask(0x00000008) size(4) SyncID(0)
	; sched_group_barrier mask(0x00000100) size(1) SyncID(0)
	flat_store_dwordx4 v[20:21], a[8:11] offset:928
	v_mfma_f32_16x16x128_f8f6f4 a[16:19], v[144:151], v[80:87], a[16:19]
	s_nop 9
	flat_store_dwordx4 v[20:21], a[12:15] offset:944
	v_mfma_f32_16x16x128_f8f6f4 a[20:23], v[144:151], v[96:103], a[20:23]
	flat_store_dwordx4 v[20:21], a[16:19] offset:960
	v_mfma_f32_16x16x128_f8f6f4 a[24:27], v[144:151], v[112:119], a[24:27]
	s_nop 9
	flat_store_dwordx4 v[20:21], a[20:23] offset:976
	v_mfma_f32_16x16x128_f8f6f4 a[28:31], v[144:151], v[128:135], a[28:31]
	; sched_group_barrier mask(0x00000008) size(4) SyncID(0)
	; sched_group_barrier mask(0x00000100) size(1) SyncID(0)
	flat_store_dwordx4 v[20:21], a[24:27] offset:992
	s_nop 10
	flat_store_dwordx4 v[20:21], a[28:31] offset:1008
	s_waitcnt lgkmcnt(0)
	s_barrier
	flat_load_dwordx3 v[16:18], v[0:1] offset:1132
	flat_load_dwordx2 v[22:23], v[0:1] offset:1184
	flat_load_dwordx2 v[10:11], v[0:1] offset:1148
	flat_load_dword v19, v[0:1] offset:1176
	flat_load_dwordx2 v[24:25], v[8:9] offset:16
	s_waitcnt vmcnt(0) lgkmcnt(0)
	v_ashrrev_i32_e32 v27, 31, v16
	v_mov_b32_e32 v26, v16
	v_add_u32_e32 v23, 16, v23
	v_sub_u32_e32 v11, v11, v19
	v_ashrrev_i32_e32 v28, 31, v10
	v_sub_u32_e32 v29, v10, v18
	v_lshl_add_u64 v[18:19], v[24:25], 0, v[26:27]
	v_ashrrev_i32_e32 v26, 31, v23
	v_lshrrev_b32_e32 v27, 29, v28
	flat_load_dwordx4 a[0:3], v[18:19]
	v_lshrrev_b32_e32 v18, 28, v26
	v_add_u32_e32 v19, v10, v27
	v_add_u32_e32 v18, v23, v18
	v_and_b32_e32 v19, 0xffffff8, v19
	v_lshrrev_b32_e32 v26, 4, v18
	v_sub_u32_e32 v10, v10, v19
	v_add_u32_e32 v11, v11, v26
	v_xor_b32_e32 v10, v11, v10
	v_lshl_add_u32 v16, v29, 7, v16
	v_and_b32_e32 v18, -16, v18
	v_sub_u32_e32 v10, v10, v17
	v_sub_u32_e32 v18, v23, v18
	v_lshlrev_b32_e32 v10, 4, v10
	v_sub_u32_e32 v11, v16, v22
	v_add3_u32 v10, v11, v18, v10
	v_ashrrev_i32_e32 v11, 31, v10
	v_lshl_add_u64 v[10:11], v[24:25], 0, v[10:11]
	flat_load_dwordx4 a[4:7], v[10:11]
	v_mov_b32_e32 v10, v208
	;;#ASMSTART
	v_cvt_off_f32_i4 v11, v10
v_cvt_off_f32_i4 v16, v10, src0_sel:BYTE_2
v_cvt_pk_fp8_f32 v30, v11, v16
v_cvt_off_f32_i4 v11, v10, src0_sel:BYTE_1
v_cvt_off_f32_i4 v16, v10, src0_sel:BYTE_3
v_cvt_pk_fp8_f32 v31, v11, v16
v_lshrrev_b32 v17, 4, v10
v_cvt_off_f32_i4 v11, v17
v_cvt_off_f32_i4 v16, v17, src0_sel:BYTE_2
v_cvt_pk_fp8_f32 v30, v11, v16, op_sel:[0, 0, 1]
v_cvt_off_f32_i4 v11, v17, src0_sel:BYTE_1
v_cvt_off_f32_i4 v16, v17, src0_sel:BYTE_3
v_cvt_pk_fp8_f32 v31, v11, v16, op_sel:[0, 0, 1]

	;;#ASMEND
	s_nop 0
	v_mov_b32_e32 v10, v209
	;;#ASMSTART
	v_cvt_off_f32_i4 v11, v10
v_cvt_off_f32_i4 v16, v10, src0_sel:BYTE_2
v_cvt_pk_fp8_f32 v32, v11, v16
v_cvt_off_f32_i4 v11, v10, src0_sel:BYTE_1
v_cvt_off_f32_i4 v16, v10, src0_sel:BYTE_3
v_cvt_pk_fp8_f32 v33, v11, v16
v_lshrrev_b32 v17, 4, v10
v_cvt_off_f32_i4 v11, v17
v_cvt_off_f32_i4 v16, v17, src0_sel:BYTE_2
v_cvt_pk_fp8_f32 v32, v11, v16, op_sel:[0, 0, 1]
v_cvt_off_f32_i4 v11, v17, src0_sel:BYTE_1
v_cvt_off_f32_i4 v16, v17, src0_sel:BYTE_3
v_cvt_pk_fp8_f32 v33, v11, v16, op_sel:[0, 0, 1]

	;;#ASMEND
	s_nop 0
	;; [unrolled: 18-line block ×31, first 2 shown]
	v_mov_b32_e32 v10, v47
	;;#ASMSTART
	v_cvt_off_f32_i4 v11, v10
v_cvt_off_f32_i4 v16, v10, src0_sel:BYTE_2
v_cvt_pk_fp8_f32 v134, v11, v16
v_cvt_off_f32_i4 v11, v10, src0_sel:BYTE_1
v_cvt_off_f32_i4 v16, v10, src0_sel:BYTE_3
v_cvt_pk_fp8_f32 v135, v11, v16
v_lshrrev_b32 v17, 4, v10
v_cvt_off_f32_i4 v11, v17
v_cvt_off_f32_i4 v16, v17, src0_sel:BYTE_2
v_cvt_pk_fp8_f32 v134, v11, v16, op_sel:[0, 0, 1]
v_cvt_off_f32_i4 v11, v17, src0_sel:BYTE_1
v_cvt_off_f32_i4 v16, v17, src0_sel:BYTE_3
v_cvt_pk_fp8_f32 v135, v11, v16, op_sel:[0, 0, 1]

	;;#ASMEND
	; sched_barrier mask(0x00000000)
	s_nop 0
	v_accvgpr_read_b32 v10, a42
	v_accvgpr_read_b32 v11, a43
	flat_load_dwordx3 v[60:62], v[14:15]
	flat_load_dwordx4 v[16:19], v[10:11]
	s_mov_b64 s[2:3], exec
	s_waitcnt vmcnt(0) lgkmcnt(0)
	v_lshrrev_b32_e32 v10, 31, v60
	v_lshrrev_b32_e32 v74, 31, v19
	v_and_b32_e32 v39, 0xffff, v17
	v_mov_b32_e32 v38, v16
	v_add_u32_e32 v10, v60, v10
	v_lshl_add_u64 v[16:17], v[18:19], 0, v[74:75]
	v_ashrrev_i32_e32 v10, 1, v10
	v_alignbit_b32 v76, v17, v16, 1
.LBB1_105:                              ;   Parent Loop BB1_64 Depth=1
                                        ; =>  This Inner Loop Header: Depth=2
	v_readfirstlane_b32 s4, v38
	v_readfirstlane_b32 s5, v39
	;; [unrolled: 1-line block ×4, first 2 shown]
	v_cmp_eq_u64_e32 vcc, s[4:5], v[38:39]
	s_nop 0
	v_cmp_eq_u64_e64 s[0:1], s[6:7], v[76:77]
	s_and_b64 s[0:1], vcc, s[0:1]
	s_and_saveexec_b64 s[0:1], s[0:1]
	buffer_load_dwordx4 v[196:199], v10, s[4:7], 0 offen
                                        ; implicit-def: $vgpr10
	s_xor_b64 exec, exec, s[0:1]
	s_cbranch_execnz .LBB1_105
; %bb.106:                              ;   in Loop: Header=BB1_64 Depth=1
	s_mov_b64 exec, s[2:3]
	v_add_u32_e32 v10, 1, v61
	flat_store_dword v[14:15], v10 offset:4
	flat_load_dword v10, v[12:13] offset:16
	s_mov_b64 s[2:3], exec
	s_waitcnt vmcnt(0) lgkmcnt(0)
	v_add_u32_e32 v10, v10, v60
	v_lshrrev_b32_e32 v11, 31, v10
	v_add_u32_e32 v11, v10, v11
	v_ashrrev_i32_e32 v11, 1, v11
	flat_store_dword v[14:15], v10
.LBB1_107:                              ;   Parent Loop BB1_64 Depth=1
                                        ; =>  This Inner Loop Header: Depth=2
	v_readfirstlane_b32 s4, v38
	v_readfirstlane_b32 s5, v39
	v_readfirstlane_b32 s6, v76
	v_readfirstlane_b32 s7, v77
	v_cmp_eq_u64_e32 vcc, s[4:5], v[38:39]
	s_nop 0
	v_cmp_eq_u64_e64 s[0:1], s[6:7], v[76:77]
	s_and_b64 s[0:1], vcc, s[0:1]
	s_and_saveexec_b64 s[0:1], s[0:1]
	buffer_load_dwordx4 v[192:195], v11, s[4:7], 0 offen
                                        ; implicit-def: $vgpr11
	s_xor_b64 exec, exec, s[0:1]
	s_cbranch_execnz .LBB1_107
; %bb.108:                              ;   in Loop: Header=BB1_64 Depth=1
	s_mov_b64 exec, s[2:3]
	v_add_u32_e32 v11, 2, v61
	flat_store_dword v[14:15], v11 offset:4
	flat_load_dword v11, v[12:13] offset:16
	s_mov_b64 s[2:3], exec
	s_waitcnt vmcnt(0) lgkmcnt(0)
	v_add_u32_e32 v10, v11, v10
	v_lshrrev_b32_e32 v11, 31, v10
	v_add_u32_e32 v11, v10, v11
	v_ashrrev_i32_e32 v11, 1, v11
	flat_store_dword v[14:15], v10
.LBB1_109:                              ;   Parent Loop BB1_64 Depth=1
                                        ; =>  This Inner Loop Header: Depth=2
	v_readfirstlane_b32 s4, v38
	v_readfirstlane_b32 s5, v39
	v_readfirstlane_b32 s6, v76
	v_readfirstlane_b32 s7, v77
	v_cmp_eq_u64_e32 vcc, s[4:5], v[38:39]
	s_nop 0
	v_cmp_eq_u64_e64 s[0:1], s[6:7], v[76:77]
	s_and_b64 s[0:1], vcc, s[0:1]
	s_and_saveexec_b64 s[0:1], s[0:1]
	buffer_load_dwordx4 v[180:183], v11, s[4:7], 0 offen
                                        ; implicit-def: $vgpr11
	s_xor_b64 exec, exec, s[0:1]
	s_cbranch_execnz .LBB1_109
	;; [unrolled: 27-line block ×6, first 2 shown]
; %bb.118:                              ;   in Loop: Header=BB1_64 Depth=1
	s_mov_b64 exec, s[2:3]
	v_add_u32_e32 v11, 7, v61
	flat_store_dword v[14:15], v11 offset:4
	flat_load_dword v11, v[12:13] offset:16
	s_mov_b64 s[2:3], exec
	s_waitcnt vmcnt(0) lgkmcnt(0)
	v_add_u32_e32 v56, v11, v10
	v_lshrrev_b32_e32 v10, 31, v56
	v_add_u32_e32 v10, v56, v10
	v_ashrrev_i32_e32 v10, 1, v10
	flat_store_dword v[14:15], v56
.LBB1_119:                              ;   Parent Loop BB1_64 Depth=1
                                        ; =>  This Inner Loop Header: Depth=2
	v_readfirstlane_b32 s4, v38
	v_readfirstlane_b32 s5, v39
	;; [unrolled: 1-line block ×4, first 2 shown]
	v_cmp_eq_u64_e32 vcc, s[4:5], v[38:39]
	s_nop 0
	v_cmp_eq_u64_e64 s[0:1], s[6:7], v[76:77]
	s_and_b64 s[0:1], vcc, s[0:1]
	s_and_saveexec_b64 s[0:1], s[0:1]
	buffer_load_dwordx4 v[160:163], v10, s[4:7], 0 offen
                                        ; implicit-def: $vgpr10
                                        ; implicit-def: $vgpr38_vgpr39
	s_xor_b64 exec, exec, s[0:1]
	s_cbranch_execnz .LBB1_119
; %bb.120:                              ;   in Loop: Header=BB1_64 Depth=1
	s_mov_b64 exec, s[2:3]
	flat_store_dword v[14:15], v61 offset:4
	flat_load_dword v10, v[12:13] offset:16
	s_waitcnt vmcnt(0) lgkmcnt(0)
	v_mad_u64_u32 v[38:39], s[0:1], v10, -7, v[56:57]
	v_accvgpr_read_b32 v10, a40
	flat_store_dword v[14:15], v38
	v_accvgpr_read_b32 v11, a41
	flat_load_dwordx4 v[56:59], v[10:11]
	s_nop 0
	flat_load_dwordx2 v[10:11], v[14:15] offset:12
	s_waitcnt vmcnt(0) lgkmcnt(0)
	v_mov_b32_e32 v72, v57
	v_mov_b32_e32 v73, v58
	v_or_b32_e32 v17, v57, v58
	v_add_u32_e32 v16, v61, v56
	v_add_u32_e32 v19, v11, v59
	v_or3_b32 v11, v17, v56, v59
	v_pk_mov_b32 v[60:61], v[72:73], v[72:73] op_sel:[1,0]
	v_cmp_ne_u32_e32 vcc, 0, v11
	v_add_u32_e32 v17, v62, v61
	v_add_u32_e32 v18, v10, v60
	flat_store_dwordx4 v[14:15], v[16:19] offset:4
	s_and_saveexec_b64 s[0:1], vcc
	s_cbranch_execz .LBB1_122
; %bb.121:                              ;   in Loop: Header=BB1_64 Depth=1
	flat_load_dwordx3 v[16:18], v[12:13] offset:16
	s_waitcnt vmcnt(0) lgkmcnt(0)
	v_mul_lo_u32 v10, v16, v56
	v_mul_lo_u32 v11, v18, v73
	;; [unrolled: 1-line block ×3, first 2 shown]
	v_add3_u32 v10, v59, v38, v10
	v_add3_u32 v10, v10, v16, v11
	flat_store_dword v[14:15], v10
.LBB1_122:                              ;   in Loop: Header=BB1_64 Depth=1
	s_or_b64 exec, exec, s[0:1]
	flat_load_dwordx4 a[8:11], v[20:21] offset:112
	s_waitcnt vmcnt(0) lgkmcnt(0)
	v_mfma_f32_16x16x128_f8f6f4 a[8:11], a[0:7], v[128:135], a[8:11]
	flat_load_dwordx4 a[12:15], v[20:21]
	s_nop 10
	flat_store_dwordx4 v[20:21], a[8:11] offset:112
	s_waitcnt vmcnt(0) lgkmcnt(0)
	v_mfma_f32_16x16x128_f8f6f4 a[12:15], a[0:7], v[30:37], a[12:15]
	flat_load_dwordx4 a[16:19], v[20:21] offset:16
	s_nop 10
	flat_store_dwordx4 v[20:21], a[12:15]
	s_waitcnt vmcnt(0) lgkmcnt(0)
	v_mfma_f32_16x16x128_f8f6f4 a[16:19], a[0:7], v[48:55], a[16:19]
	flat_load_dwordx4 a[20:23], v[20:21] offset:32
	s_nop 10
	flat_store_dwordx4 v[20:21], a[16:19] offset:16
	s_waitcnt vmcnt(0) lgkmcnt(0)
	v_mfma_f32_16x16x128_f8f6f4 a[20:23], a[0:7], v[64:71], a[20:23]
	flat_load_dwordx4 a[24:27], v[20:21] offset:48
	s_nop 10
	flat_store_dwordx4 v[20:21], a[20:23] offset:32
	;; [unrolled: 5-line block ×5, first 2 shown]
	s_waitcnt vmcnt(0) lgkmcnt(0)
	v_mfma_f32_16x16x128_f8f6f4 a[0:3], a[0:7], v[22:29], a[36:39]
	; sched_group_barrier mask(0x00000008) size(1) SyncID(0)
	; sched_group_barrier mask(0x00000020) size(1) SyncID(0)
	; sched_group_barrier mask(0x00000008) size(1) SyncID(0)
	; sched_group_barrier mask(0x00000020) size(1) SyncID(0)
	; sched_group_barrier mask(0x00000008) size(1) SyncID(0)
	; sched_group_barrier mask(0x00000020) size(1) SyncID(0)
	; sched_group_barrier mask(0x00000008) size(1) SyncID(0)
	; sched_group_barrier mask(0x00000100) size(1) SyncID(0)
	; sched_group_barrier mask(0x00000008) size(0) SyncID(0)
	; sched_group_barrier mask(0x00000020) size(1) SyncID(0)
	; sched_group_barrier mask(0x00000008) size(1) SyncID(0)
	; sched_group_barrier mask(0x00000020) size(1) SyncID(0)
	; sched_group_barrier mask(0x00000008) size(1) SyncID(0)
	; sched_group_barrier mask(0x00000020) size(1) SyncID(0)
	; sched_group_barrier mask(0x00000008) size(1) SyncID(0)
	; sched_group_barrier mask(0x00000020) size(1) SyncID(0)
	; sched_group_barrier mask(0x00000008) size(1) SyncID(0)
	; sched_group_barrier mask(0x00000100) size(1) SyncID(0)
	; sched_group_barrier mask(0x00000008) size(0) SyncID(0)
	; sched_group_barrier mask(0x00000020) size(1) SyncID(0)
	s_nop 11
	flat_store_dwordx4 v[20:21], a[0:3] offset:96
	flat_load_dwordx2 v[10:11], v[0:1] offset:1148
	flat_load_dwordx2 v[26:27], v[0:1] offset:1164
	flat_load_dwordx4 v[16:19], v[0:1] offset:1176
	flat_load_dwordx3 v[22:24], v[0:1] offset:1132
	flat_load_dwordx2 v[28:29], v[8:9] offset:16
	s_waitcnt vmcnt(0) lgkmcnt(0)
	v_sub_u32_e32 v10, v10, v27
	v_add_u32_e32 v19, 16, v19
	v_add_u32_e32 v16, v26, v16
	v_add3_u32 v10, v10, v17, 32
	v_sub_u32_e32 v25, v11, v26
	v_ashrrev_i32_e32 v17, 31, v19
	v_sub_u32_e32 v11, v11, v16
	v_ashrrev_i32_e32 v16, 31, v10
	v_lshrrev_b32_e32 v17, 28, v17
	v_lshrrev_b32_e32 v16, 29, v16
	v_sub_u32_e32 v24, v10, v24
	v_add_u32_e32 v17, v19, v17
	v_add_u32_e32 v16, v10, v16
	v_lshl_add_u32 v22, v24, 7, v22
	v_lshrrev_b32_e32 v24, 4, v17
	v_and_b32_e32 v16, -8, v16
	v_add_u32_e32 v11, v11, v24
	v_sub_u32_e32 v10, v10, v16
	v_xor_b32_e32 v16, v10, v25
	v_xor_b32_e32 v10, v11, v10
	v_and_b32_e32 v17, -16, v17
	v_sub_u32_e32 v11, v16, v23
	v_sub_u32_e32 v16, v10, v23
	;; [unrolled: 1-line block ×4, first 2 shown]
	v_lshl_add_u32 v10, v11, 4, v22
	v_lshlrev_b32_e32 v16, 4, v16
	v_ashrrev_i32_e32 v11, 31, v10
	v_add3_u32 v16, v18, v17, v16
	v_lshl_add_u64 v[10:11], v[28:29], 0, v[10:11]
	v_ashrrev_i32_e32 v17, 31, v16
	flat_load_dwordx4 a[0:3], v[10:11]
	v_lshl_add_u64 v[10:11], v[28:29], 0, v[16:17]
	flat_load_dwordx4 a[4:7], v[10:11]
	v_mov_b32_e32 v10, v208
	;;#ASMSTART
	v_cvt_off_f32_i4 v11, v10
v_cvt_off_f32_i4 v16, v10, src0_sel:BYTE_2
v_cvt_pk_fp8_f32 v22, v11, v16
v_cvt_off_f32_i4 v11, v10, src0_sel:BYTE_1
v_cvt_off_f32_i4 v16, v10, src0_sel:BYTE_3
v_cvt_pk_fp8_f32 v23, v11, v16
v_lshrrev_b32 v17, 4, v10
v_cvt_off_f32_i4 v11, v17
v_cvt_off_f32_i4 v16, v17, src0_sel:BYTE_2
v_cvt_pk_fp8_f32 v22, v11, v16, op_sel:[0, 0, 1]
v_cvt_off_f32_i4 v11, v17, src0_sel:BYTE_1
v_cvt_off_f32_i4 v16, v17, src0_sel:BYTE_3
v_cvt_pk_fp8_f32 v23, v11, v16, op_sel:[0, 0, 1]

	;;#ASMEND
	s_nop 0
	v_mov_b32_e32 v10, v209
	;;#ASMSTART
	v_cvt_off_f32_i4 v11, v10
v_cvt_off_f32_i4 v16, v10, src0_sel:BYTE_2
v_cvt_pk_fp8_f32 v24, v11, v16
v_cvt_off_f32_i4 v11, v10, src0_sel:BYTE_1
v_cvt_off_f32_i4 v16, v10, src0_sel:BYTE_3
v_cvt_pk_fp8_f32 v25, v11, v16
v_lshrrev_b32 v17, 4, v10
v_cvt_off_f32_i4 v11, v17
v_cvt_off_f32_i4 v16, v17, src0_sel:BYTE_2
v_cvt_pk_fp8_f32 v24, v11, v16, op_sel:[0, 0, 1]
v_cvt_off_f32_i4 v11, v17, src0_sel:BYTE_1
v_cvt_off_f32_i4 v16, v17, src0_sel:BYTE_3
v_cvt_pk_fp8_f32 v25, v11, v16, op_sel:[0, 0, 1]

	;;#ASMEND
	s_nop 0
	;; [unrolled: 18-line block ×31, first 2 shown]
	v_mov_b32_e32 v10, v47
	;;#ASMSTART
	v_cvt_off_f32_i4 v11, v10
v_cvt_off_f32_i4 v16, v10, src0_sel:BYTE_2
v_cvt_pk_fp8_f32 v134, v11, v16
v_cvt_off_f32_i4 v11, v10, src0_sel:BYTE_1
v_cvt_off_f32_i4 v16, v10, src0_sel:BYTE_3
v_cvt_pk_fp8_f32 v135, v11, v16
v_lshrrev_b32 v17, 4, v10
v_cvt_off_f32_i4 v11, v17
v_cvt_off_f32_i4 v16, v17, src0_sel:BYTE_2
v_cvt_pk_fp8_f32 v134, v11, v16, op_sel:[0, 0, 1]
v_cvt_off_f32_i4 v11, v17, src0_sel:BYTE_1
v_cvt_off_f32_i4 v16, v17, src0_sel:BYTE_3
v_cvt_pk_fp8_f32 v135, v11, v16, op_sel:[0, 0, 1]

	;;#ASMEND
	; sched_barrier mask(0x00000000)
	flat_load_ubyte v10, v[4:5] offset:304
	flat_load_ubyte v11, v[4:5] offset:320
	;; [unrolled: 1-line block ×7, first 2 shown]
	flat_load_dwordx4 v[16:19], v[4:5] offset:16
	flat_load_dwordx4 v[56:59], v[4:5] offset:32
	;; [unrolled: 1-line block ×7, first 2 shown]
	flat_load_ubyte v76, v[4:5] offset:288
	flat_load_dwordx4 v[120:123], v[4:5]
	; sched_group_barrier mask(0x00000008) size(0) SyncID(0)
	; sched_group_barrier mask(0x00000200) size(1) SyncID(0)
	s_waitcnt vmcnt(0) lgkmcnt(0)
	v_and_b32_e32 v10, 1, v10
	v_and_b32_e32 v11, 1, v11
	;; [unrolled: 1-line block ×7, first 2 shown]
	v_cmp_eq_u32_e32 vcc, 1, v10
	v_cmp_eq_u32_e64 s[0:1], 1, v11
	v_cmp_eq_u32_e64 s[2:3], 1, v38
	;; [unrolled: 1-line block ×6, first 2 shown]
	v_cndmask_b32_e32 v19, 0, v19, vcc
	v_cndmask_b32_e32 v18, 0, v18, vcc
	;; [unrolled: 1-line block ×4, first 2 shown]
	v_cndmask_b32_e64 v57, 0, v57, s[0:1]
	v_cndmask_b32_e64 v56, 0, v56, s[0:1]
	;; [unrolled: 1-line block ×24, first 2 shown]
	flat_store_dwordx4 v[4:5], v[16:19] offset:16
	flat_store_dwordx4 v[4:5], v[56:59] offset:32
	;; [unrolled: 1-line block ×7, first 2 shown]
	flat_load_dwordx2 v[124:125], v[4:5] offset:27
	flat_load_dwordx2 v[136:137], v[4:5] offset:43
	;; [unrolled: 1-line block ×6, first 2 shown]
	v_and_b32_e32 v11, 1, v76
	v_cmp_eq_u32_e32 vcc, 1, v11
	v_perm_b32 v11, v18, v18, s18
	flat_store_byte_d16_hi v[4:5], v18 offset:586
	v_lshrrev_b64 v[126:127], 24, v[56:57]
	v_lshlrev_b32_e32 v18, 8, v58
	v_lshrrev_b64 v[138:139], 24, v[60:61]
	v_lshlrev_b32_e32 v19, 8, v62
	;; [unrolled: 2-line block ×6, first 2 shown]
	v_cndmask_b32_e32 v123, 0, v123, vcc
	v_cndmask_b32_e32 v122, 0, v122, vcc
	;; [unrolled: 1-line block ×4, first 2 shown]
	v_perm_b32 v16, v16, v16, s17
	v_alignbit_b32 v57, v111, v110, 24
	v_lshrrev_b32_e32 v59, 24, v111
	v_or_b32_e32 v127, v127, v18
	v_or_b32_e32 v139, v139, v19
	;; [unrolled: 1-line block ×6, first 2 shown]
	flat_load_dword v10, v[4:5] offset:728
	s_nop 0
	flat_store_dwordx4 v[4:5], v[120:123]
	flat_store_dwordx4 v[4:5], v[120:123] offset:560
	flat_store_short v[4:5], v11 offset:584
	flat_store_dwordx2 v[4:5], v[16:17] offset:576
	flat_store_byte v[4:5], v59 offset:687
	flat_store_dword v[4:5], v57 offset:683
	s_waitcnt vmcnt(0) lgkmcnt(0)
	flat_store_dwordx4 v[4:5], v[124:127] offset:587
	flat_store_dwordx4 v[4:5], v[136:139] offset:603
	;; [unrolled: 1-line block ×6, first 2 shown]
	flat_load_dwordx2 v[16:17], v[8:9]
	v_ashrrev_i32_e32 v11, 31, v10
	s_waitcnt vmcnt(0) lgkmcnt(0)
	v_lshl_add_u64 v[10:11], v[16:17], 0, v[10:11]
	flat_store_dwordx4 v[10:11], v[120:123]
	flat_load_dword v11, v[4:5] offset:776
	v_mov_b32_e32 v10, v75
	flat_load_dwordx4 v[16:19], v[4:5] offset:748
	s_waitcnt vmcnt(0) lgkmcnt(0)
	flat_load_dword v18, v[4:5] offset:764
	flat_load_dword v38, v[4:5] offset:744
	flat_load_dwordx3 v[56:58], v[4:5] offset:728
	v_add_u32_e32 v11, 1, v11
	flat_store_dwordx2 v[4:5], v[10:11] offset:760
	v_sub_u32_e32 v17, v16, v19
	s_waitcnt vmcnt(0) lgkmcnt(0)
	v_sub_u32_e32 v16, v11, v18
	v_add_u32_e32 v16, v38, v16
	v_ashrrev_i32_e32 v10, 31, v16
	v_lshrrev_b32_e32 v10, 29, v10
	v_add_u32_e32 v10, v16, v10
	v_and_b32_e32 v10, -8, v10
	v_sub_u32_e32 v10, v16, v10
	v_xor_b32_e32 v59, v17, v10
	flat_store_dword v[4:5], v11 offset:776
	v_sub_u32_e32 v11, v16, v58
	v_sub_u32_e32 v10, v59, v57
	v_lshlrev_b32_e32 v11, 7, v11
	v_lshlrev_b32_e32 v10, 4, v10
	v_mov_b32_e32 v60, v16
	v_add3_u32 v58, v11, v10, v56
	flat_store_dwordx2 v[4:5], v[16:17] offset:744
	flat_store_dwordx3 v[4:5], v[58:60] offset:728
	flat_load_dwordx2 v[10:11], v[8:9]
	s_nop 0
	flat_load_dwordx4 v[16:19], v[4:5] offset:576
	v_ashrrev_i32_e32 v59, 31, v58
	s_waitcnt vmcnt(0) lgkmcnt(0)
	v_lshl_add_u64 v[10:11], v[10:11], 0, v[58:59]
	flat_store_dwordx4 v[10:11], v[16:19]
	flat_load_dword v11, v[4:5] offset:776
	s_nop 0
	flat_load_dwordx4 v[16:19], v[4:5] offset:748
	s_waitcnt vmcnt(0) lgkmcnt(0)
	flat_load_dword v18, v[4:5] offset:764
	flat_load_dword v38, v[4:5] offset:744
	flat_load_dwordx3 v[56:58], v[4:5] offset:728
	v_mov_b32_e32 v10, v75
	v_add_u32_e32 v11, 1, v11
	v_sub_u32_e32 v17, v16, v19
	s_waitcnt vmcnt(0) lgkmcnt(0)
	v_sub_u32_e32 v16, v11, v18
	v_add_u32_e32 v16, v38, v16
	flat_store_dwordx2 v[4:5], v[10:11] offset:760
	v_ashrrev_i32_e32 v10, 31, v16
	v_lshrrev_b32_e32 v10, 29, v10
	v_add_u32_e32 v10, v16, v10
	v_and_b32_e32 v10, -8, v10
	v_sub_u32_e32 v10, v16, v10
	v_xor_b32_e32 v59, v17, v10
	flat_store_dword v[4:5], v11 offset:776
	v_sub_u32_e32 v11, v16, v58
	v_sub_u32_e32 v10, v59, v57
	v_lshlrev_b32_e32 v11, 7, v11
	v_lshlrev_b32_e32 v10, 4, v10
	v_mov_b32_e32 v60, v16
	v_add3_u32 v58, v11, v10, v56
	flat_store_dwordx2 v[4:5], v[16:17] offset:744
	flat_store_dwordx3 v[4:5], v[58:60] offset:728
	flat_load_dwordx2 v[10:11], v[8:9]
	s_nop 0
	flat_load_dwordx4 v[16:19], v[4:5] offset:592
	v_ashrrev_i32_e32 v59, 31, v58
	s_waitcnt vmcnt(0) lgkmcnt(0)
	v_lshl_add_u64 v[10:11], v[10:11], 0, v[58:59]
	flat_store_dwordx4 v[10:11], v[16:19]
	flat_load_dword v11, v[4:5] offset:776
	s_nop 0
	flat_load_dwordx4 v[16:19], v[4:5] offset:748
	s_waitcnt vmcnt(0) lgkmcnt(0)
	flat_load_dword v18, v[4:5] offset:764
	flat_load_dword v38, v[4:5] offset:744
	flat_load_dwordx3 v[56:58], v[4:5] offset:728
	v_mov_b32_e32 v10, v75
	v_add_u32_e32 v11, 1, v11
	v_sub_u32_e32 v17, v16, v19
	s_waitcnt vmcnt(0) lgkmcnt(0)
	v_sub_u32_e32 v16, v11, v18
	v_add_u32_e32 v16, v38, v16
	flat_store_dwordx2 v[4:5], v[10:11] offset:760
	v_ashrrev_i32_e32 v10, 31, v16
	v_lshrrev_b32_e32 v10, 29, v10
	v_add_u32_e32 v10, v16, v10
	v_and_b32_e32 v10, -8, v10
	v_sub_u32_e32 v10, v16, v10
	v_xor_b32_e32 v59, v17, v10
	flat_store_dword v[4:5], v11 offset:776
	v_sub_u32_e32 v11, v16, v58
	v_sub_u32_e32 v10, v59, v57
	v_lshlrev_b32_e32 v11, 7, v11
	v_lshlrev_b32_e32 v10, 4, v10
	v_mov_b32_e32 v60, v16
	v_add3_u32 v58, v11, v10, v56
	flat_store_dwordx2 v[4:5], v[16:17] offset:744
	flat_store_dwordx3 v[4:5], v[58:60] offset:728
	flat_load_dwordx2 v[10:11], v[8:9]
	s_nop 0
	flat_load_dwordx4 v[16:19], v[4:5] offset:608
	v_ashrrev_i32_e32 v59, 31, v58
	s_waitcnt vmcnt(0) lgkmcnt(0)
	v_lshl_add_u64 v[10:11], v[10:11], 0, v[58:59]
	flat_store_dwordx4 v[10:11], v[16:19]
	flat_load_dword v11, v[4:5] offset:776
	s_nop 0
	flat_load_dwordx4 v[16:19], v[4:5] offset:748
	s_waitcnt vmcnt(0) lgkmcnt(0)
	flat_load_dword v18, v[4:5] offset:764
	flat_load_dword v38, v[4:5] offset:744
	flat_load_dwordx3 v[56:58], v[4:5] offset:728
	v_mov_b32_e32 v10, v75
	v_add_u32_e32 v11, 1, v11
	v_sub_u32_e32 v17, v16, v19
	s_waitcnt vmcnt(0) lgkmcnt(0)
	v_sub_u32_e32 v16, v11, v18
	v_add_u32_e32 v16, v38, v16
	flat_store_dwordx2 v[4:5], v[10:11] offset:760
	v_ashrrev_i32_e32 v10, 31, v16
	v_lshrrev_b32_e32 v10, 29, v10
	v_add_u32_e32 v10, v16, v10
	v_and_b32_e32 v10, -8, v10
	v_sub_u32_e32 v10, v16, v10
	v_xor_b32_e32 v59, v17, v10
	flat_store_dword v[4:5], v11 offset:776
	v_sub_u32_e32 v11, v16, v58
	v_sub_u32_e32 v10, v59, v57
	v_lshlrev_b32_e32 v11, 7, v11
	v_lshlrev_b32_e32 v10, 4, v10
	v_mov_b32_e32 v60, v16
	v_add3_u32 v58, v11, v10, v56
	flat_store_dwordx2 v[4:5], v[16:17] offset:744
	flat_store_dwordx3 v[4:5], v[58:60] offset:728
	flat_load_dwordx2 v[10:11], v[8:9]
	s_nop 0
	flat_load_dwordx4 v[16:19], v[4:5] offset:624
	v_ashrrev_i32_e32 v59, 31, v58
	s_waitcnt vmcnt(0) lgkmcnt(0)
	v_lshl_add_u64 v[10:11], v[10:11], 0, v[58:59]
	flat_store_dwordx4 v[10:11], v[16:19]
	flat_load_dword v11, v[4:5] offset:776
	s_nop 0
	flat_load_dwordx4 v[16:19], v[4:5] offset:748
	s_waitcnt vmcnt(0) lgkmcnt(0)
	flat_load_dword v18, v[4:5] offset:764
	flat_load_dword v38, v[4:5] offset:744
	flat_load_dwordx3 v[56:58], v[4:5] offset:728
	v_mov_b32_e32 v10, v75
	v_add_u32_e32 v11, 1, v11
	v_sub_u32_e32 v17, v16, v19
	s_waitcnt vmcnt(0) lgkmcnt(0)
	v_sub_u32_e32 v16, v11, v18
	v_add_u32_e32 v16, v38, v16
	flat_store_dwordx2 v[4:5], v[10:11] offset:760
	v_ashrrev_i32_e32 v10, 31, v16
	v_lshrrev_b32_e32 v10, 29, v10
	v_add_u32_e32 v10, v16, v10
	v_and_b32_e32 v10, -8, v10
	v_sub_u32_e32 v10, v16, v10
	v_xor_b32_e32 v59, v17, v10
	flat_store_dword v[4:5], v11 offset:776
	v_sub_u32_e32 v11, v16, v58
	v_sub_u32_e32 v10, v59, v57
	v_lshlrev_b32_e32 v11, 7, v11
	v_lshlrev_b32_e32 v10, 4, v10
	v_mov_b32_e32 v60, v16
	v_add3_u32 v58, v11, v10, v56
	flat_store_dwordx2 v[4:5], v[16:17] offset:744
	flat_store_dwordx3 v[4:5], v[58:60] offset:728
	flat_load_dwordx2 v[10:11], v[8:9]
	s_nop 0
	flat_load_dwordx4 v[16:19], v[4:5] offset:640
	v_ashrrev_i32_e32 v59, 31, v58
	s_waitcnt vmcnt(0) lgkmcnt(0)
	v_lshl_add_u64 v[10:11], v[10:11], 0, v[58:59]
	flat_store_dwordx4 v[10:11], v[16:19]
	flat_load_dword v11, v[4:5] offset:776
	s_nop 0
	flat_load_dwordx4 v[16:19], v[4:5] offset:748
	s_waitcnt vmcnt(0) lgkmcnt(0)
	flat_load_dword v18, v[4:5] offset:764
	flat_load_dword v38, v[4:5] offset:744
	flat_load_dwordx3 v[56:58], v[4:5] offset:728
	v_mov_b32_e32 v10, v75
	v_add_u32_e32 v11, 1, v11
	v_sub_u32_e32 v17, v16, v19
	s_waitcnt vmcnt(0) lgkmcnt(0)
	v_sub_u32_e32 v16, v11, v18
	v_add_u32_e32 v16, v38, v16
	flat_store_dwordx2 v[4:5], v[10:11] offset:760
	v_ashrrev_i32_e32 v10, 31, v16
	v_lshrrev_b32_e32 v10, 29, v10
	v_add_u32_e32 v10, v16, v10
	v_and_b32_e32 v10, -8, v10
	v_sub_u32_e32 v10, v16, v10
	v_xor_b32_e32 v59, v17, v10
	flat_store_dword v[4:5], v11 offset:776
	v_sub_u32_e32 v11, v16, v58
	v_sub_u32_e32 v10, v59, v57
	v_lshlrev_b32_e32 v11, 7, v11
	v_lshlrev_b32_e32 v10, 4, v10
	v_mov_b32_e32 v60, v16
	v_add3_u32 v58, v11, v10, v56
	flat_store_dwordx2 v[4:5], v[16:17] offset:744
	flat_store_dwordx3 v[4:5], v[58:60] offset:728
	flat_load_dwordx2 v[10:11], v[8:9]
	s_nop 0
	flat_load_dwordx4 v[16:19], v[4:5] offset:656
	v_ashrrev_i32_e32 v59, 31, v58
	s_waitcnt vmcnt(0) lgkmcnt(0)
	v_lshl_add_u64 v[10:11], v[10:11], 0, v[58:59]
	flat_store_dwordx4 v[10:11], v[16:19]
	flat_load_dword v11, v[4:5] offset:776
	s_nop 0
	flat_load_dwordx4 v[16:19], v[4:5] offset:748
	s_waitcnt vmcnt(0) lgkmcnt(0)
	flat_load_dword v18, v[4:5] offset:764
	flat_load_dword v38, v[4:5] offset:744
	flat_load_dwordx3 v[56:58], v[4:5] offset:728
	v_mov_b32_e32 v10, v75
	v_add_u32_e32 v11, 1, v11
	v_sub_u32_e32 v17, v16, v19
	s_waitcnt vmcnt(0) lgkmcnt(0)
	v_sub_u32_e32 v16, v11, v18
	v_add_u32_e32 v16, v38, v16
	flat_store_dwordx2 v[4:5], v[10:11] offset:760
	v_ashrrev_i32_e32 v10, 31, v16
	v_lshrrev_b32_e32 v10, 29, v10
	v_add_u32_e32 v10, v16, v10
	v_and_b32_e32 v10, -8, v10
	v_sub_u32_e32 v10, v16, v10
	v_xor_b32_e32 v59, v17, v10
	flat_store_dword v[4:5], v11 offset:776
	v_sub_u32_e32 v11, v16, v58
	v_sub_u32_e32 v10, v59, v57
	v_lshlrev_b32_e32 v11, 7, v11
	v_lshlrev_b32_e32 v10, 4, v10
	v_mov_b32_e32 v60, v16
	v_add3_u32 v58, v11, v10, v56
	flat_store_dwordx2 v[4:5], v[16:17] offset:744
	flat_store_dwordx3 v[4:5], v[58:60] offset:728
	flat_load_dwordx2 v[10:11], v[8:9]
	v_mov_b32_e32 v56, v75
	flat_load_dwordx4 v[16:19], v[4:5] offset:672
	v_ashrrev_i32_e32 v59, 31, v58
	s_waitcnt vmcnt(0) lgkmcnt(0)
	v_lshl_add_u64 v[10:11], v[10:11], 0, v[58:59]
	flat_store_dwordx4 v[10:11], v[16:19]
	flat_load_dword v19, v[4:5] offset:776
	s_nop 0
	flat_load_dwordx2 v[10:11], v[4:5] offset:760
	flat_load_dwordx2 v[38:39], v[4:5] offset:744
	flat_load_dwordx3 v[16:18], v[4:5] offset:728
	s_waitcnt vmcnt(0) lgkmcnt(0)
	v_add_u32_e32 v57, -7, v19
	flat_store_dword v[4:5], v57 offset:776
	v_sub_u32_e32 v39, v39, v10
	v_sub_u32_e32 v10, v57, v11
	v_add_u32_e32 v38, v38, v10
	v_ashrrev_i32_e32 v10, 31, v38
	v_lshrrev_b32_e32 v10, 29, v10
	v_add_u32_e32 v10, v38, v10
	v_and_b32_e32 v10, -8, v10
	v_sub_u32_e32 v10, v38, v10
	flat_store_dwordx2 v[4:5], v[56:57] offset:760
	v_xor_b32_e32 v57, v39, v10
	v_sub_u32_e32 v11, v38, v18
	v_sub_u32_e32 v10, v57, v17
	v_lshlrev_b32_e32 v11, 7, v11
	v_lshlrev_b32_e32 v10, 4, v10
	v_mov_b32_e32 v58, v38
	v_add3_u32 v56, v11, v10, v16
	flat_store_dwordx2 v[4:5], v[38:39] offset:744
	flat_store_dwordx3 v[4:5], v[56:58] offset:728
	flat_load_dwordx4 a[8:11], v[20:21] offset:128
	flat_load_dwordx4 a[12:15], v[20:21] offset:144
	;; [unrolled: 1-line block ×8, first 2 shown]
	s_waitcnt vmcnt(0) lgkmcnt(0)
	v_mfma_f32_16x16x128_f8f6f4 a[8:11], a[0:7], v[22:29], a[8:11]
	; sched_group_barrier mask(0x00000008) size(1) SyncID(0)
	; sched_group_barrier mask(0x00000100) size(1) SyncID(0)
	; sched_group_barrier mask(0x00000008) size(0) SyncID(0)
	; sched_group_barrier mask(0x00000200) size(1) SyncID(0)
	s_nop 11
	flat_store_dwordx4 v[20:21], a[8:11] offset:128
	v_mfma_f32_16x16x128_f8f6f4 a[12:15], a[0:7], v[30:37], a[12:15]
	; sched_group_barrier mask(0x00000008) size(1) SyncID(0)
	; sched_group_barrier mask(0x00000100) size(1) SyncID(0)
	v_mfma_f32_16x16x128_f8f6f4 a[16:19], a[0:7], v[48:55], a[16:19]
	; sched_group_barrier mask(0x00000008) size(1) SyncID(0)
	; sched_group_barrier mask(0x00000200) size(1) SyncID(0)
	s_nop 10
	flat_store_dwordx4 v[20:21], a[12:15] offset:144
	v_mfma_f32_16x16x128_f8f6f4 a[20:23], a[0:7], v[64:71], a[20:23]
	; sched_group_barrier mask(0x00000008) size(1) SyncID(0)
	; sched_group_barrier mask(0x00000200) size(1) SyncID(0)
	flat_store_dwordx4 v[20:21], a[16:19] offset:160
	v_mfma_f32_16x16x128_f8f6f4 a[24:27], a[0:7], v[80:87], a[24:27]
	; sched_group_barrier mask(0x00000008) size(1) SyncID(0)
	; sched_group_barrier mask(0x00000200) size(1) SyncID(0)
	s_nop 9
	flat_store_dwordx4 v[20:21], a[20:23] offset:176
	v_mfma_f32_16x16x128_f8f6f4 a[28:31], a[0:7], v[96:103], a[28:31]
	; sched_group_barrier mask(0x00000008) size(1) SyncID(0)
	; sched_group_barrier mask(0x00000200) size(1) SyncID(0)
	flat_store_dwordx4 v[20:21], a[24:27] offset:192
	;; [unrolled: 9-line block ×3, first 2 shown]
	s_nop 10
	flat_store_dwordx4 v[20:21], a[0:3] offset:240
	flat_load_dwordx2 v[10:11], v[0:1] offset:1148
	flat_load_dwordx2 v[26:27], v[0:1] offset:1164
	flat_load_dwordx4 v[16:19], v[0:1] offset:1176
	flat_load_dwordx3 v[22:24], v[0:1] offset:1132
	flat_load_dwordx2 v[28:29], v[8:9] offset:16
	s_waitcnt vmcnt(0) lgkmcnt(0)
	v_sub_u32_e32 v10, v10, v27
	v_add_u32_e32 v19, 16, v19
	v_add_u32_e32 v16, v26, v16
	v_add3_u32 v10, v10, v17, 64
	v_sub_u32_e32 v25, v11, v26
	v_ashrrev_i32_e32 v17, 31, v19
	v_sub_u32_e32 v11, v11, v16
	v_ashrrev_i32_e32 v16, 31, v10
	v_lshrrev_b32_e32 v17, 28, v17
	v_lshrrev_b32_e32 v16, 29, v16
	v_sub_u32_e32 v24, v10, v24
	v_add_u32_e32 v17, v19, v17
	v_add_u32_e32 v16, v10, v16
	v_lshl_add_u32 v22, v24, 7, v22
	v_lshrrev_b32_e32 v24, 4, v17
	v_and_b32_e32 v16, -8, v16
	v_add_u32_e32 v11, v11, v24
	v_sub_u32_e32 v10, v10, v16
	v_xor_b32_e32 v16, v10, v25
	v_xor_b32_e32 v10, v11, v10
	v_and_b32_e32 v17, -16, v17
	v_sub_u32_e32 v11, v16, v23
	v_sub_u32_e32 v16, v10, v23
	;; [unrolled: 1-line block ×4, first 2 shown]
	v_lshl_add_u32 v10, v11, 4, v22
	v_lshlrev_b32_e32 v16, 4, v16
	v_ashrrev_i32_e32 v11, 31, v10
	v_add3_u32 v16, v18, v17, v16
	v_lshl_add_u64 v[10:11], v[28:29], 0, v[10:11]
	v_ashrrev_i32_e32 v17, 31, v16
	flat_load_dwordx4 a[0:3], v[10:11]
	v_lshl_add_u64 v[10:11], v[28:29], 0, v[16:17]
	flat_load_dwordx4 a[4:7], v[10:11]
	v_mov_b32_e32 v10, v208
	;;#ASMSTART
	v_cvt_off_f32_i4 v11, v10
v_cvt_off_f32_i4 v16, v10, src0_sel:BYTE_2
v_cvt_pk_fp8_f32 v112, v11, v16
v_cvt_off_f32_i4 v11, v10, src0_sel:BYTE_1
v_cvt_off_f32_i4 v16, v10, src0_sel:BYTE_3
v_cvt_pk_fp8_f32 v113, v11, v16
v_lshrrev_b32 v17, 4, v10
v_cvt_off_f32_i4 v11, v17
v_cvt_off_f32_i4 v16, v17, src0_sel:BYTE_2
v_cvt_pk_fp8_f32 v112, v11, v16, op_sel:[0, 0, 1]
v_cvt_off_f32_i4 v11, v17, src0_sel:BYTE_1
v_cvt_off_f32_i4 v16, v17, src0_sel:BYTE_3
v_cvt_pk_fp8_f32 v113, v11, v16, op_sel:[0, 0, 1]

	;;#ASMEND
	s_nop 0
	v_mov_b32_e32 v10, v209
	;;#ASMSTART
	v_cvt_off_f32_i4 v11, v10
v_cvt_off_f32_i4 v16, v10, src0_sel:BYTE_2
v_cvt_pk_fp8_f32 v114, v11, v16
v_cvt_off_f32_i4 v11, v10, src0_sel:BYTE_1
v_cvt_off_f32_i4 v16, v10, src0_sel:BYTE_3
v_cvt_pk_fp8_f32 v115, v11, v16
v_lshrrev_b32 v17, 4, v10
v_cvt_off_f32_i4 v11, v17
v_cvt_off_f32_i4 v16, v17, src0_sel:BYTE_2
v_cvt_pk_fp8_f32 v114, v11, v16, op_sel:[0, 0, 1]
v_cvt_off_f32_i4 v11, v17, src0_sel:BYTE_1
v_cvt_off_f32_i4 v16, v17, src0_sel:BYTE_3
v_cvt_pk_fp8_f32 v115, v11, v16, op_sel:[0, 0, 1]

	;;#ASMEND
	s_nop 0
	;; [unrolled: 18-line block ×31, first 2 shown]
	v_mov_b32_e32 v10, v47
	;;#ASMSTART
	v_cvt_off_f32_i4 v11, v10
v_cvt_off_f32_i4 v16, v10, src0_sel:BYTE_2
v_cvt_pk_fp8_f32 v102, v11, v16
v_cvt_off_f32_i4 v11, v10, src0_sel:BYTE_1
v_cvt_off_f32_i4 v16, v10, src0_sel:BYTE_3
v_cvt_pk_fp8_f32 v103, v11, v16
v_lshrrev_b32 v17, 4, v10
v_cvt_off_f32_i4 v11, v17
v_cvt_off_f32_i4 v16, v17, src0_sel:BYTE_2
v_cvt_pk_fp8_f32 v102, v11, v16, op_sel:[0, 0, 1]
v_cvt_off_f32_i4 v11, v17, src0_sel:BYTE_1
v_cvt_off_f32_i4 v16, v17, src0_sel:BYTE_3
v_cvt_pk_fp8_f32 v103, v11, v16, op_sel:[0, 0, 1]

	;;#ASMEND
	; sched_barrier mask(0x00000000)
	s_nop 0
	v_mov_b32_e32 v10, 1
	flat_store_byte v[4:5], v10 offset:288
	flat_load_dwordx4 v[56:59], v[6:7]
	flat_load_dwordx2 v[38:39], v[4:5] offset:704
	s_waitcnt vmcnt(0) lgkmcnt(0)
	v_mov_b32_e32 v59, v77
	s_mov_b64 s[2:3], exec
	v_and_b32_e32 v57, 0xffff, v57
.LBB1_123:                              ;   Parent Loop BB1_64 Depth=1
                                        ; =>  This Inner Loop Header: Depth=2
	v_readfirstlane_b32 s4, v56
	v_readfirstlane_b32 s5, v57
	;; [unrolled: 1-line block ×4, first 2 shown]
	v_cmp_eq_u64_e32 vcc, s[4:5], v[56:57]
	s_nop 0
	v_cmp_eq_u64_e64 s[0:1], s[6:7], v[58:59]
	s_and_b64 s[0:1], vcc, s[0:1]
	s_and_saveexec_b64 s[0:1], s[0:1]
	buffer_load_dwordx4 v[60:63], v38, s[4:7], 0 offen
                                        ; implicit-def: $vgpr56_vgpr57_vgpr58_vgpr59
	s_xor_b64 exec, exec, s[0:1]
	s_cbranch_execnz .LBB1_123
; %bb.124:                              ;   in Loop: Header=BB1_64 Depth=1
	s_mov_b64 exec, s[2:3]
	flat_load_dwordx3 v[72:74], v[4:5] offset:716
	v_add_u32_e32 v10, 1, v39
	flat_store_dword v[4:5], v10 offset:708
	s_waitcnt vmcnt(0)
	flat_store_dwordx4 v[4:5], v[60:63]
	v_mov_b32_e32 v11, 1
	flat_store_byte v[4:5], v11 offset:304
	s_mov_b64 s[2:3], exec
	s_waitcnt lgkmcnt(0)
	v_add_u32_e32 v10, 1, v74
	flat_store_dword v[4:5], v10 offset:724
	flat_load_dword v10, v[2:3] offset:8
	s_waitcnt vmcnt(0) lgkmcnt(0)
	v_add_u32_e32 v10, v10, v38
	flat_store_dword v[4:5], v10 offset:704
	flat_load_dwordx4 v[56:59], v[6:7]
	s_waitcnt vmcnt(0) lgkmcnt(0)
	v_mov_b32_e32 v59, v77
	v_and_b32_e32 v57, 0xffff, v57
.LBB1_125:                              ;   Parent Loop BB1_64 Depth=1
                                        ; =>  This Inner Loop Header: Depth=2
	v_readfirstlane_b32 s4, v56
	v_readfirstlane_b32 s5, v57
	v_readfirstlane_b32 s6, v58
	v_readfirstlane_b32 s7, v59
	v_cmp_eq_u64_e32 vcc, s[4:5], v[56:57]
	s_nop 0
	v_cmp_eq_u64_e64 s[0:1], s[6:7], v[58:59]
	s_and_b64 s[0:1], vcc, s[0:1]
	s_and_saveexec_b64 s[0:1], s[0:1]
	buffer_load_dwordx4 v[60:63], v10, s[4:7], 0 offen
                                        ; implicit-def: $vgpr56_vgpr57_vgpr58_vgpr59
	s_xor_b64 exec, exec, s[0:1]
	s_cbranch_execnz .LBB1_125
; %bb.126:                              ;   in Loop: Header=BB1_64 Depth=1
	s_mov_b64 exec, s[2:3]
	v_add_u32_e32 v11, 2, v74
	flat_store_dword v[4:5], v11 offset:724
	v_add_u32_e32 v11, 2, v39
	s_waitcnt vmcnt(0)
	flat_store_dwordx4 v[4:5], v[60:63] offset:16
	flat_store_dword v[4:5], v11 offset:708
	flat_load_dword v11, v[2:3] offset:8
	v_mov_b32_e32 v16, 1
	flat_store_byte v[4:5], v16 offset:320
	s_mov_b64 s[2:3], exec
	s_waitcnt vmcnt(0) lgkmcnt(0)
	v_add_u32_e32 v10, v11, v10
	flat_store_dword v[4:5], v10 offset:704
	flat_load_dwordx4 v[56:59], v[6:7]
	s_waitcnt vmcnt(0) lgkmcnt(0)
	v_mov_b32_e32 v59, v77
	v_and_b32_e32 v57, 0xffff, v57
.LBB1_127:                              ;   Parent Loop BB1_64 Depth=1
                                        ; =>  This Inner Loop Header: Depth=2
	v_readfirstlane_b32 s4, v56
	v_readfirstlane_b32 s5, v57
	v_readfirstlane_b32 s6, v58
	v_readfirstlane_b32 s7, v59
	v_cmp_eq_u64_e32 vcc, s[4:5], v[56:57]
	s_nop 0
	v_cmp_eq_u64_e64 s[0:1], s[6:7], v[58:59]
	s_and_b64 s[0:1], vcc, s[0:1]
	s_and_saveexec_b64 s[0:1], s[0:1]
	buffer_load_dwordx4 v[60:63], v10, s[4:7], 0 offen
                                        ; implicit-def: $vgpr56_vgpr57_vgpr58_vgpr59
	s_xor_b64 exec, exec, s[0:1]
	s_cbranch_execnz .LBB1_127
; %bb.128:                              ;   in Loop: Header=BB1_64 Depth=1
	s_mov_b64 exec, s[2:3]
	v_add_u32_e32 v11, 3, v74
	flat_store_dword v[4:5], v11 offset:724
	v_add_u32_e32 v11, 3, v39
	s_waitcnt vmcnt(0)
	flat_store_dwordx4 v[4:5], v[60:63] offset:32
	flat_store_dword v[4:5], v11 offset:708
	flat_load_dword v11, v[2:3] offset:8
	v_mov_b32_e32 v16, 1
	flat_store_byte v[4:5], v16 offset:336
	s_mov_b64 s[2:3], exec
	s_waitcnt vmcnt(0) lgkmcnt(0)
	v_add_u32_e32 v10, v11, v10
	flat_store_dword v[4:5], v10 offset:704
	flat_load_dwordx4 v[56:59], v[6:7]
	s_waitcnt vmcnt(0) lgkmcnt(0)
	v_mov_b32_e32 v59, v77
	v_and_b32_e32 v57, 0xffff, v57
.LBB1_129:                              ;   Parent Loop BB1_64 Depth=1
                                        ; =>  This Inner Loop Header: Depth=2
	v_readfirstlane_b32 s4, v56
	v_readfirstlane_b32 s5, v57
	v_readfirstlane_b32 s6, v58
	v_readfirstlane_b32 s7, v59
	v_cmp_eq_u64_e32 vcc, s[4:5], v[56:57]
	s_nop 0
	v_cmp_eq_u64_e64 s[0:1], s[6:7], v[58:59]
	s_and_b64 s[0:1], vcc, s[0:1]
	s_and_saveexec_b64 s[0:1], s[0:1]
	buffer_load_dwordx4 v[60:63], v10, s[4:7], 0 offen
                                        ; implicit-def: $vgpr56_vgpr57_vgpr58_vgpr59
	s_xor_b64 exec, exec, s[0:1]
	s_cbranch_execnz .LBB1_129
; %bb.130:                              ;   in Loop: Header=BB1_64 Depth=1
	s_mov_b64 exec, s[2:3]
	v_add_u32_e32 v11, 4, v74
	flat_store_dword v[4:5], v11 offset:724
	v_add_u32_e32 v11, 4, v39
	s_waitcnt vmcnt(0)
	flat_store_dwordx4 v[4:5], v[60:63] offset:48
	flat_store_dword v[4:5], v11 offset:708
	flat_load_dword v11, v[2:3] offset:8
	v_mov_b32_e32 v16, 1
	flat_store_byte v[4:5], v16 offset:352
	s_mov_b64 s[2:3], exec
	s_waitcnt vmcnt(0) lgkmcnt(0)
	v_add_u32_e32 v10, v11, v10
	flat_store_dword v[4:5], v10 offset:704
	flat_load_dwordx4 v[56:59], v[6:7]
	s_waitcnt vmcnt(0) lgkmcnt(0)
	v_mov_b32_e32 v59, v77
	v_and_b32_e32 v57, 0xffff, v57
.LBB1_131:                              ;   Parent Loop BB1_64 Depth=1
                                        ; =>  This Inner Loop Header: Depth=2
	v_readfirstlane_b32 s4, v56
	v_readfirstlane_b32 s5, v57
	v_readfirstlane_b32 s6, v58
	v_readfirstlane_b32 s7, v59
	v_cmp_eq_u64_e32 vcc, s[4:5], v[56:57]
	s_nop 0
	v_cmp_eq_u64_e64 s[0:1], s[6:7], v[58:59]
	s_and_b64 s[0:1], vcc, s[0:1]
	s_and_saveexec_b64 s[0:1], s[0:1]
	buffer_load_dwordx4 v[60:63], v10, s[4:7], 0 offen
                                        ; implicit-def: $vgpr56_vgpr57_vgpr58_vgpr59
	s_xor_b64 exec, exec, s[0:1]
	s_cbranch_execnz .LBB1_131
; %bb.132:                              ;   in Loop: Header=BB1_64 Depth=1
	s_mov_b64 exec, s[2:3]
	v_add_u32_e32 v11, 5, v74
	flat_store_dword v[4:5], v11 offset:724
	v_add_u32_e32 v11, 5, v39
	s_waitcnt vmcnt(0)
	flat_store_dwordx4 v[4:5], v[60:63] offset:64
	flat_store_dword v[4:5], v11 offset:708
	flat_load_dword v11, v[2:3] offset:8
	v_mov_b32_e32 v16, 1
	flat_store_byte v[4:5], v16 offset:368
	s_mov_b64 s[2:3], exec
	s_waitcnt vmcnt(0) lgkmcnt(0)
	v_add_u32_e32 v10, v11, v10
	flat_store_dword v[4:5], v10 offset:704
	flat_load_dwordx4 v[56:59], v[6:7]
	s_waitcnt vmcnt(0) lgkmcnt(0)
	v_mov_b32_e32 v59, v77
	v_and_b32_e32 v57, 0xffff, v57
.LBB1_133:                              ;   Parent Loop BB1_64 Depth=1
                                        ; =>  This Inner Loop Header: Depth=2
	v_readfirstlane_b32 s4, v56
	v_readfirstlane_b32 s5, v57
	v_readfirstlane_b32 s6, v58
	v_readfirstlane_b32 s7, v59
	v_cmp_eq_u64_e32 vcc, s[4:5], v[56:57]
	s_nop 0
	v_cmp_eq_u64_e64 s[0:1], s[6:7], v[58:59]
	s_and_b64 s[0:1], vcc, s[0:1]
	s_and_saveexec_b64 s[0:1], s[0:1]
	buffer_load_dwordx4 v[60:63], v10, s[4:7], 0 offen
                                        ; implicit-def: $vgpr56_vgpr57_vgpr58_vgpr59
	s_xor_b64 exec, exec, s[0:1]
	s_cbranch_execnz .LBB1_133
; %bb.134:                              ;   in Loop: Header=BB1_64 Depth=1
	s_mov_b64 exec, s[2:3]
	v_add_u32_e32 v11, 6, v74
	flat_store_dword v[4:5], v11 offset:724
	v_add_u32_e32 v11, 6, v39
	s_waitcnt vmcnt(0)
	flat_store_dwordx4 v[4:5], v[60:63] offset:80
	flat_store_dword v[4:5], v11 offset:708
	flat_load_dword v11, v[2:3] offset:8
	v_mov_b32_e32 v16, 1
	flat_store_byte v[4:5], v16 offset:384
	s_mov_b64 s[2:3], exec
	s_waitcnt vmcnt(0) lgkmcnt(0)
	v_add_u32_e32 v10, v11, v10
	flat_store_dword v[4:5], v10 offset:704
	flat_load_dwordx4 v[56:59], v[6:7]
	s_waitcnt vmcnt(0) lgkmcnt(0)
	v_mov_b32_e32 v59, v77
	v_and_b32_e32 v57, 0xffff, v57
.LBB1_135:                              ;   Parent Loop BB1_64 Depth=1
                                        ; =>  This Inner Loop Header: Depth=2
	v_readfirstlane_b32 s4, v56
	v_readfirstlane_b32 s5, v57
	;; [unrolled: 1-line block ×4, first 2 shown]
	v_cmp_eq_u64_e32 vcc, s[4:5], v[56:57]
	s_nop 0
	v_cmp_eq_u64_e64 s[0:1], s[6:7], v[58:59]
	s_and_b64 s[0:1], vcc, s[0:1]
	s_and_saveexec_b64 s[0:1], s[0:1]
	buffer_load_dwordx4 v[60:63], v10, s[4:7], 0 offen
                                        ; implicit-def: $vgpr56_vgpr57_vgpr58_vgpr59
	s_xor_b64 exec, exec, s[0:1]
	s_cbranch_execnz .LBB1_135
; %bb.136:                              ;   in Loop: Header=BB1_64 Depth=1
	s_mov_b64 exec, s[2:3]
	v_add_u32_e32 v11, 7, v74
	flat_store_dword v[4:5], v11 offset:724
	v_add_u32_e32 v11, 7, v39
	s_waitcnt vmcnt(0)
	flat_store_dwordx4 v[4:5], v[60:63] offset:96
	flat_store_dword v[4:5], v11 offset:708
	flat_load_dword v11, v[2:3] offset:8
	s_mov_b64 s[2:3], exec
	s_waitcnt vmcnt(0) lgkmcnt(0)
	v_add_u32_e32 v10, v11, v10
	flat_store_dword v[4:5], v10 offset:704
	flat_load_dwordx4 v[56:59], v[6:7]
	v_mov_b32_e32 v11, 1
	s_waitcnt vmcnt(0) lgkmcnt(0)
	v_mov_b32_e32 v59, v77
	flat_store_byte v[4:5], v11 offset:400
	v_and_b32_e32 v57, 0xffff, v57
.LBB1_137:                              ;   Parent Loop BB1_64 Depth=1
                                        ; =>  This Inner Loop Header: Depth=2
	v_readfirstlane_b32 s4, v56
	v_readfirstlane_b32 s5, v57
	;; [unrolled: 1-line block ×4, first 2 shown]
	v_cmp_eq_u64_e32 vcc, s[4:5], v[56:57]
	s_nop 0
	v_cmp_eq_u64_e64 s[0:1], s[6:7], v[58:59]
	s_and_b64 s[0:1], vcc, s[0:1]
	s_and_saveexec_b64 s[0:1], s[0:1]
	buffer_load_dwordx4 v[60:63], v10, s[4:7], 0 offen
                                        ; implicit-def: $vgpr56_vgpr57_vgpr58_vgpr59
	s_xor_b64 exec, exec, s[0:1]
	s_cbranch_execnz .LBB1_137
; %bb.138:                              ;   in Loop: Header=BB1_64 Depth=1
	s_mov_b64 exec, s[2:3]
	v_accvgpr_read_b32 v16, a44
	s_waitcnt vmcnt(0)
	flat_store_dwordx4 v[4:5], v[60:63] offset:112
	v_accvgpr_read_b32 v17, a45
	flat_load_dwordx3 v[56:58], v[16:17]
	s_waitcnt vmcnt(0) lgkmcnt(0)
	v_add_u32_e32 v11, -7, v57
	v_add_u32_e32 v18, v57, v74
	v_add_u32_e32 v17, v73, v58
	;; [unrolled: 1-line block ×3, first 2 shown]
	v_cmp_ne_u32_e32 vcc, 0, v11
	flat_store_dwordx3 v[4:5], v[16:18] offset:716
	s_and_saveexec_b64 s[0:1], vcc
	s_cbranch_execz .LBB1_140
; %bb.139:                              ;   in Loop: Header=BB1_64 Depth=1
	v_add_u32_e32 v16, v57, v39
	flat_store_dword v[4:5], v16 offset:708
.LBB1_140:                              ;   in Loop: Header=BB1_64 Depth=1
	s_or_b64 exec, exec, s[0:1]
	v_or_b32_e32 v16, v58, v56
	v_mov_b32_e32 v38, 0
	v_cmp_ne_u32_e32 vcc, 0, v16
	s_and_saveexec_b64 s[0:1], vcc
	s_cbranch_execz .LBB1_142
; %bb.141:                              ;   in Loop: Header=BB1_64 Depth=1
	flat_load_dword v17, v[2:3] offset:24
	flat_load_dword v19, v[4:5] offset:712
	v_mov_b32_e32 v18, v58
	s_waitcnt vmcnt(0) lgkmcnt(0)
	v_mad_u64_u32 v[38:39], s[2:3], v17, v56, v[18:19]
	v_add_u32_e32 v17, v38, v19
	flat_store_dword v[4:5], v17 offset:712
.LBB1_142:                              ;   in Loop: Header=BB1_64 Depth=1
	s_or_b64 exec, exec, s[0:1]
	v_or_b32_e32 v16, v16, v11
	v_cmp_ne_u32_e32 vcc, 0, v16
	s_and_saveexec_b64 s[0:1], vcc
	s_cbranch_execz .LBB1_63
; %bb.143:                              ;   in Loop: Header=BB1_64 Depth=1
	flat_load_dword v16, v[2:3] offset:8
	s_waitcnt vmcnt(0) lgkmcnt(0)
	v_mul_lo_u32 v11, v16, v11
	v_add3_u32 v10, v38, v10, v11
	flat_store_dword v[4:5], v10 offset:704
	s_branch .LBB1_63
.LBB1_144:
	s_or_b64 exec, exec, s[14:15]
	flat_load_dwordx4 a[8:11], v[20:21]
	flat_load_dwordx4 a[12:15], v[20:21] offset:16
	flat_load_dwordx4 a[16:19], v[20:21] offset:32
	;; [unrolled: 1-line block ×7, first 2 shown]
	s_waitcnt vmcnt(0) lgkmcnt(0)
	v_mfma_f32_16x16x128_f8f6f4 a[8:11], a[0:7], v[24:31], a[8:11]
	s_nop 11
	flat_store_dwordx4 v[20:21], a[8:11]
	v_mfma_f32_16x16x128_f8f6f4 a[12:15], a[0:7], v[48:55], a[12:15]
	v_mfma_f32_16x16x128_f8f6f4 a[16:19], a[0:7], v[64:71], a[16:19]
	s_nop 10
	flat_store_dwordx4 v[20:21], a[12:15] offset:16
	v_mfma_f32_16x16x128_f8f6f4 a[20:23], a[0:7], v[80:87], a[20:23]
	; sched_group_barrier mask(0x00000008) size(4) SyncID(0)
	; sched_group_barrier mask(0x00000100) size(1) SyncID(0)
	flat_store_dwordx4 v[20:21], a[16:19] offset:32
	v_mfma_f32_16x16x128_f8f6f4 a[24:27], a[0:7], v[96:103], a[24:27]
	s_nop 9
	flat_store_dwordx4 v[20:21], a[20:23] offset:48
	v_mfma_f32_16x16x128_f8f6f4 a[28:31], a[0:7], v[112:119], a[28:31]
	flat_store_dwordx4 v[20:21], a[24:27] offset:64
	v_mfma_f32_16x16x128_f8f6f4 a[32:35], a[0:7], v[128:135], a[32:35]
	s_nop 9
	flat_store_dwordx4 v[20:21], a[28:31] offset:80
	v_mfma_f32_16x16x128_f8f6f4 a[0:3], a[0:7], v[32:39], a[36:39]
	; sched_group_barrier mask(0x00000008) size(4) SyncID(0)
	; sched_group_barrier mask(0x00000100) size(1) SyncID(0)
	flat_store_dwordx4 v[20:21], a[32:35] offset:96
	s_nop 10
	flat_store_dwordx4 v[20:21], a[0:3] offset:112
	flat_load_dwordx2 v[6:7], v[0:1] offset:1148
	flat_load_dwordx2 v[14:15], v[0:1] offset:1164
	flat_load_dwordx4 v[2:5], v[0:1] offset:1176
	flat_load_dwordx3 v[10:12], v[0:1] offset:1132
	flat_load_dwordx2 v[16:17], v[8:9]
	s_waitcnt vmcnt(0) lgkmcnt(0)
	v_sub_u32_e32 v6, v6, v15
	v_add_u32_e32 v5, 16, v5
	v_add_u32_e32 v2, v14, v2
	v_add3_u32 v3, v6, v3, 32
	v_sub_u32_e32 v13, v7, v14
	v_ashrrev_i32_e32 v6, 31, v5
	v_sub_u32_e32 v2, v7, v2
	v_ashrrev_i32_e32 v7, 31, v3
	v_lshrrev_b32_e32 v6, 28, v6
	v_lshrrev_b32_e32 v7, 29, v7
	v_sub_u32_e32 v12, v3, v12
	v_add_u32_e32 v6, v5, v6
	v_add_u32_e32 v7, v3, v7
	v_lshl_add_u32 v10, v12, 7, v10
	v_lshrrev_b32_e32 v12, 4, v6
	v_and_b32_e32 v7, -8, v7
	v_and_b32_e32 v6, -16, v6
	v_add_u32_e32 v2, v2, v12
	v_sub_u32_e32 v3, v3, v7
	v_sub_u32_e32 v5, v5, v6
	v_xor_b32_e32 v6, v3, v13
	v_xor_b32_e32 v2, v2, v3
	v_sub_u32_e32 v3, v6, v11
	v_sub_u32_e32 v6, v2, v11
	;; [unrolled: 1-line block ×3, first 2 shown]
	v_lshl_add_u32 v2, v3, 4, v10
	v_lshlrev_b32_e32 v6, 4, v6
	v_ashrrev_i32_e32 v3, 31, v2
	v_add3_u32 v4, v4, v5, v6
	v_lshl_add_u64 v[2:3], v[16:17], 0, v[2:3]
	v_ashrrev_i32_e32 v5, 31, v4
	flat_load_dwordx4 v[128:131], v[2:3]
	v_lshl_add_u64 v[2:3], v[16:17], 0, v[4:5]
	flat_load_dwordx4 v[132:135], v[2:3]
	v_mov_b32_e32 v2, v196
	;;#ASMSTART
	v_cvt_off_f32_i4 v3, v2
v_cvt_off_f32_i4 v4, v2, src0_sel:BYTE_2
v_cvt_pk_fp8_f32 v10, v3, v4
v_cvt_off_f32_i4 v3, v2, src0_sel:BYTE_1
v_cvt_off_f32_i4 v4, v2, src0_sel:BYTE_3
v_cvt_pk_fp8_f32 v11, v3, v4
v_lshrrev_b32 v5, 4, v2
v_cvt_off_f32_i4 v3, v5
v_cvt_off_f32_i4 v4, v5, src0_sel:BYTE_2
v_cvt_pk_fp8_f32 v10, v3, v4, op_sel:[0, 0, 1]
v_cvt_off_f32_i4 v3, v5, src0_sel:BYTE_1
v_cvt_off_f32_i4 v4, v5, src0_sel:BYTE_3
v_cvt_pk_fp8_f32 v11, v3, v4, op_sel:[0, 0, 1]

	;;#ASMEND
	s_nop 0
	v_mov_b32_e32 v2, v197
	;;#ASMSTART
	v_cvt_off_f32_i4 v3, v2
v_cvt_off_f32_i4 v4, v2, src0_sel:BYTE_2
v_cvt_pk_fp8_f32 v12, v3, v4
v_cvt_off_f32_i4 v3, v2, src0_sel:BYTE_1
v_cvt_off_f32_i4 v4, v2, src0_sel:BYTE_3
v_cvt_pk_fp8_f32 v13, v3, v4
v_lshrrev_b32 v5, 4, v2
v_cvt_off_f32_i4 v3, v5
v_cvt_off_f32_i4 v4, v5, src0_sel:BYTE_2
v_cvt_pk_fp8_f32 v12, v3, v4, op_sel:[0, 0, 1]
v_cvt_off_f32_i4 v3, v5, src0_sel:BYTE_1
v_cvt_off_f32_i4 v4, v5, src0_sel:BYTE_3
v_cvt_pk_fp8_f32 v13, v3, v4, op_sel:[0, 0, 1]

	;;#ASMEND
	s_nop 0
	;; [unrolled: 18-line block ×31, first 2 shown]
	v_mov_b32_e32 v2, v213
	;;#ASMSTART
	v_cvt_off_f32_i4 v3, v2
v_cvt_off_f32_i4 v4, v2, src0_sel:BYTE_2
v_cvt_pk_fp8_f32 v118, v3, v4
v_cvt_off_f32_i4 v3, v2, src0_sel:BYTE_1
v_cvt_off_f32_i4 v4, v2, src0_sel:BYTE_3
v_cvt_pk_fp8_f32 v119, v3, v4
v_lshrrev_b32 v5, 4, v2
v_cvt_off_f32_i4 v3, v5
v_cvt_off_f32_i4 v4, v5, src0_sel:BYTE_2
v_cvt_pk_fp8_f32 v118, v3, v4, op_sel:[0, 0, 1]
v_cvt_off_f32_i4 v3, v5, src0_sel:BYTE_1
v_cvt_off_f32_i4 v4, v5, src0_sel:BYTE_3
v_cvt_pk_fp8_f32 v119, v3, v4, op_sel:[0, 0, 1]

	;;#ASMEND
	; sched_barrier mask(0x00000000)
	flat_load_dwordx4 a[0:3], v[20:21] offset:128
	flat_load_dwordx4 a[4:7], v[20:21] offset:144
	;; [unrolled: 1-line block ×8, first 2 shown]
	s_waitcnt vmcnt(0) lgkmcnt(0)
	v_mfma_f32_16x16x128_f8f6f4 a[0:3], v[128:135], v[10:17], a[0:3]
	s_nop 11
	flat_store_dwordx4 v[20:21], a[0:3] offset:128
	v_mfma_f32_16x16x128_f8f6f4 a[4:7], v[128:135], v[24:31], a[4:7]
	v_mfma_f32_16x16x128_f8f6f4 a[8:11], v[128:135], v[32:39], a[8:11]
	s_nop 10
	flat_store_dwordx4 v[20:21], a[4:7] offset:144
	v_mfma_f32_16x16x128_f8f6f4 a[12:15], v[128:135], v[48:55], a[12:15]
	; sched_group_barrier mask(0x00000008) size(4) SyncID(0)
	; sched_group_barrier mask(0x00000100) size(1) SyncID(0)
	flat_store_dwordx4 v[20:21], a[8:11] offset:160
	v_mfma_f32_16x16x128_f8f6f4 a[16:19], v[128:135], v[64:71], a[16:19]
	s_nop 9
	flat_store_dwordx4 v[20:21], a[12:15] offset:176
	v_mfma_f32_16x16x128_f8f6f4 a[20:23], v[128:135], v[80:87], a[20:23]
	flat_store_dwordx4 v[20:21], a[16:19] offset:192
	v_mfma_f32_16x16x128_f8f6f4 a[24:27], v[128:135], v[96:103], a[24:27]
	s_nop 9
	flat_store_dwordx4 v[20:21], a[20:23] offset:208
	v_mfma_f32_16x16x128_f8f6f4 a[28:31], v[128:135], v[112:119], a[28:31]
	; sched_group_barrier mask(0x00000008) size(4) SyncID(0)
	; sched_group_barrier mask(0x00000100) size(1) SyncID(0)
	flat_store_dwordx4 v[20:21], a[24:27] offset:224
	s_nop 10
	flat_store_dwordx4 v[20:21], a[28:31] offset:240
	flat_load_dwordx2 v[6:7], v[0:1] offset:1148
	flat_load_dwordx2 v[14:15], v[0:1] offset:1164
	flat_load_dwordx4 v[2:5], v[0:1] offset:1176
	flat_load_dwordx3 v[10:12], v[0:1] offset:1132
	flat_load_dwordx2 v[16:17], v[8:9]
	s_waitcnt vmcnt(0) lgkmcnt(0)
	v_sub_u32_e32 v6, v6, v15
	v_add_u32_e32 v5, 16, v5
	v_add_u32_e32 v2, v14, v2
	v_add3_u32 v3, v6, v3, 64
	v_sub_u32_e32 v13, v7, v14
	v_ashrrev_i32_e32 v6, 31, v5
	v_sub_u32_e32 v2, v7, v2
	v_ashrrev_i32_e32 v7, 31, v3
	v_lshrrev_b32_e32 v6, 28, v6
	v_lshrrev_b32_e32 v7, 29, v7
	v_sub_u32_e32 v12, v3, v12
	v_add_u32_e32 v6, v5, v6
	v_add_u32_e32 v7, v3, v7
	v_lshl_add_u32 v10, v12, 7, v10
	v_lshrrev_b32_e32 v12, 4, v6
	v_and_b32_e32 v7, -8, v7
	v_and_b32_e32 v6, -16, v6
	v_add_u32_e32 v2, v2, v12
	v_sub_u32_e32 v3, v3, v7
	v_sub_u32_e32 v5, v5, v6
	v_xor_b32_e32 v6, v3, v13
	v_xor_b32_e32 v2, v2, v3
	v_sub_u32_e32 v3, v6, v11
	v_sub_u32_e32 v6, v2, v11
	;; [unrolled: 1-line block ×3, first 2 shown]
	v_lshl_add_u32 v2, v3, 4, v10
	v_lshlrev_b32_e32 v6, 4, v6
	v_ashrrev_i32_e32 v3, 31, v2
	v_add3_u32 v4, v4, v5, v6
	v_lshl_add_u64 v[2:3], v[16:17], 0, v[2:3]
	v_ashrrev_i32_e32 v5, 31, v4
	flat_load_dwordx4 v[128:131], v[2:3]
	v_lshl_add_u64 v[2:3], v[16:17], 0, v[4:5]
	flat_load_dwordx4 v[132:135], v[2:3]
	v_mov_b32_e32 v2, v196
	;;#ASMSTART
	v_cvt_off_f32_i4 v3, v2
v_cvt_off_f32_i4 v4, v2, src0_sel:BYTE_2
v_cvt_pk_fp8_f32 v10, v3, v4
v_cvt_off_f32_i4 v3, v2, src0_sel:BYTE_1
v_cvt_off_f32_i4 v4, v2, src0_sel:BYTE_3
v_cvt_pk_fp8_f32 v11, v3, v4
v_lshrrev_b32 v5, 4, v2
v_cvt_off_f32_i4 v3, v5
v_cvt_off_f32_i4 v4, v5, src0_sel:BYTE_2
v_cvt_pk_fp8_f32 v10, v3, v4, op_sel:[0, 0, 1]
v_cvt_off_f32_i4 v3, v5, src0_sel:BYTE_1
v_cvt_off_f32_i4 v4, v5, src0_sel:BYTE_3
v_cvt_pk_fp8_f32 v11, v3, v4, op_sel:[0, 0, 1]

	;;#ASMEND
	s_nop 0
	v_mov_b32_e32 v2, v197
	;;#ASMSTART
	v_cvt_off_f32_i4 v3, v2
v_cvt_off_f32_i4 v4, v2, src0_sel:BYTE_2
v_cvt_pk_fp8_f32 v12, v3, v4
v_cvt_off_f32_i4 v3, v2, src0_sel:BYTE_1
v_cvt_off_f32_i4 v4, v2, src0_sel:BYTE_3
v_cvt_pk_fp8_f32 v13, v3, v4
v_lshrrev_b32 v5, 4, v2
v_cvt_off_f32_i4 v3, v5
v_cvt_off_f32_i4 v4, v5, src0_sel:BYTE_2
v_cvt_pk_fp8_f32 v12, v3, v4, op_sel:[0, 0, 1]
v_cvt_off_f32_i4 v3, v5, src0_sel:BYTE_1
v_cvt_off_f32_i4 v4, v5, src0_sel:BYTE_3
v_cvt_pk_fp8_f32 v13, v3, v4, op_sel:[0, 0, 1]

	;;#ASMEND
	s_nop 0
	;; [unrolled: 18-line block ×31, first 2 shown]
	v_mov_b32_e32 v2, v213
	;;#ASMSTART
	v_cvt_off_f32_i4 v3, v2
v_cvt_off_f32_i4 v4, v2, src0_sel:BYTE_2
v_cvt_pk_fp8_f32 v118, v3, v4
v_cvt_off_f32_i4 v3, v2, src0_sel:BYTE_1
v_cvt_off_f32_i4 v4, v2, src0_sel:BYTE_3
v_cvt_pk_fp8_f32 v119, v3, v4
v_lshrrev_b32 v5, 4, v2
v_cvt_off_f32_i4 v3, v5
v_cvt_off_f32_i4 v4, v5, src0_sel:BYTE_2
v_cvt_pk_fp8_f32 v118, v3, v4, op_sel:[0, 0, 1]
v_cvt_off_f32_i4 v3, v5, src0_sel:BYTE_1
v_cvt_off_f32_i4 v4, v5, src0_sel:BYTE_3
v_cvt_pk_fp8_f32 v119, v3, v4, op_sel:[0, 0, 1]

	;;#ASMEND
	; sched_barrier mask(0x00000000)
	flat_load_dwordx4 a[0:3], v[20:21] offset:256
	flat_load_dwordx4 a[4:7], v[20:21] offset:272
	;; [unrolled: 1-line block ×8, first 2 shown]
	s_movk_i32 s0, 0x60
	s_waitcnt vmcnt(0) lgkmcnt(0)
	v_mfma_f32_16x16x128_f8f6f4 a[0:3], v[128:135], v[10:17], a[0:3]
	s_nop 11
	flat_store_dwordx4 v[20:21], a[0:3] offset:256
	v_mfma_f32_16x16x128_f8f6f4 a[4:7], v[128:135], v[24:31], a[4:7]
	v_mfma_f32_16x16x128_f8f6f4 a[8:11], v[128:135], v[32:39], a[8:11]
	s_nop 10
	flat_store_dwordx4 v[20:21], a[4:7] offset:272
	v_mfma_f32_16x16x128_f8f6f4 a[12:15], v[128:135], v[48:55], a[12:15]
	; sched_group_barrier mask(0x00000008) size(4) SyncID(0)
	; sched_group_barrier mask(0x00000100) size(1) SyncID(0)
	flat_store_dwordx4 v[20:21], a[8:11] offset:288
	v_mfma_f32_16x16x128_f8f6f4 a[16:19], v[128:135], v[64:71], a[16:19]
	s_nop 9
	flat_store_dwordx4 v[20:21], a[12:15] offset:304
	v_mfma_f32_16x16x128_f8f6f4 a[20:23], v[128:135], v[80:87], a[20:23]
	flat_store_dwordx4 v[20:21], a[16:19] offset:320
	v_mfma_f32_16x16x128_f8f6f4 a[24:27], v[128:135], v[96:103], a[24:27]
	s_nop 9
	flat_store_dwordx4 v[20:21], a[20:23] offset:336
	v_mfma_f32_16x16x128_f8f6f4 a[28:31], v[128:135], v[112:119], a[28:31]
	; sched_group_barrier mask(0x00000008) size(4) SyncID(0)
	; sched_group_barrier mask(0x00000100) size(1) SyncID(0)
	flat_store_dwordx4 v[20:21], a[24:27] offset:352
	s_nop 10
	flat_store_dwordx4 v[20:21], a[28:31] offset:368
	flat_load_dwordx2 v[6:7], v[0:1] offset:1148
	flat_load_dwordx2 v[14:15], v[0:1] offset:1164
	flat_load_dwordx4 v[2:5], v[0:1] offset:1176
	flat_load_dwordx3 v[10:12], v[0:1] offset:1132
	flat_load_dwordx2 v[16:17], v[8:9]
	s_waitcnt vmcnt(0) lgkmcnt(0)
	v_sub_u32_e32 v6, v6, v15
	v_add_u32_e32 v5, 16, v5
	v_add_u32_e32 v2, v14, v2
	v_add3_u32 v3, v6, v3, s0
	v_sub_u32_e32 v13, v7, v14
	v_ashrrev_i32_e32 v6, 31, v5
	v_sub_u32_e32 v2, v7, v2
	v_ashrrev_i32_e32 v7, 31, v3
	v_lshrrev_b32_e32 v6, 28, v6
	v_lshrrev_b32_e32 v7, 29, v7
	v_sub_u32_e32 v12, v3, v12
	v_add_u32_e32 v6, v5, v6
	v_add_u32_e32 v7, v3, v7
	v_lshl_add_u32 v10, v12, 7, v10
	v_lshrrev_b32_e32 v12, 4, v6
	v_and_b32_e32 v7, -8, v7
	v_and_b32_e32 v6, -16, v6
	v_add_u32_e32 v2, v2, v12
	v_sub_u32_e32 v3, v3, v7
	v_sub_u32_e32 v5, v5, v6
	v_xor_b32_e32 v6, v3, v13
	v_xor_b32_e32 v2, v2, v3
	v_sub_u32_e32 v3, v6, v11
	v_sub_u32_e32 v6, v2, v11
	;; [unrolled: 1-line block ×3, first 2 shown]
	v_lshl_add_u32 v2, v3, 4, v10
	v_lshlrev_b32_e32 v6, 4, v6
	v_ashrrev_i32_e32 v3, 31, v2
	v_add3_u32 v4, v4, v5, v6
	v_lshl_add_u64 v[2:3], v[16:17], 0, v[2:3]
	v_ashrrev_i32_e32 v5, 31, v4
	flat_load_dwordx4 v[128:131], v[2:3]
	v_lshl_add_u64 v[2:3], v[16:17], 0, v[4:5]
	flat_load_dwordx4 v[132:135], v[2:3]
	v_mov_b32_e32 v2, v196
	;;#ASMSTART
	v_cvt_off_f32_i4 v3, v2
v_cvt_off_f32_i4 v4, v2, src0_sel:BYTE_2
v_cvt_pk_fp8_f32 v10, v3, v4
v_cvt_off_f32_i4 v3, v2, src0_sel:BYTE_1
v_cvt_off_f32_i4 v4, v2, src0_sel:BYTE_3
v_cvt_pk_fp8_f32 v11, v3, v4
v_lshrrev_b32 v5, 4, v2
v_cvt_off_f32_i4 v3, v5
v_cvt_off_f32_i4 v4, v5, src0_sel:BYTE_2
v_cvt_pk_fp8_f32 v10, v3, v4, op_sel:[0, 0, 1]
v_cvt_off_f32_i4 v3, v5, src0_sel:BYTE_1
v_cvt_off_f32_i4 v4, v5, src0_sel:BYTE_3
v_cvt_pk_fp8_f32 v11, v3, v4, op_sel:[0, 0, 1]

	;;#ASMEND
	s_nop 0
	v_mov_b32_e32 v2, v197
	;;#ASMSTART
	v_cvt_off_f32_i4 v3, v2
v_cvt_off_f32_i4 v4, v2, src0_sel:BYTE_2
v_cvt_pk_fp8_f32 v12, v3, v4
v_cvt_off_f32_i4 v3, v2, src0_sel:BYTE_1
v_cvt_off_f32_i4 v4, v2, src0_sel:BYTE_3
v_cvt_pk_fp8_f32 v13, v3, v4
v_lshrrev_b32 v5, 4, v2
v_cvt_off_f32_i4 v3, v5
v_cvt_off_f32_i4 v4, v5, src0_sel:BYTE_2
v_cvt_pk_fp8_f32 v12, v3, v4, op_sel:[0, 0, 1]
v_cvt_off_f32_i4 v3, v5, src0_sel:BYTE_1
v_cvt_off_f32_i4 v4, v5, src0_sel:BYTE_3
v_cvt_pk_fp8_f32 v13, v3, v4, op_sel:[0, 0, 1]

	;;#ASMEND
	s_nop 0
	;; [unrolled: 18-line block ×31, first 2 shown]
	v_mov_b32_e32 v2, v213
	;;#ASMSTART
	v_cvt_off_f32_i4 v3, v2
v_cvt_off_f32_i4 v4, v2, src0_sel:BYTE_2
v_cvt_pk_fp8_f32 v118, v3, v4
v_cvt_off_f32_i4 v3, v2, src0_sel:BYTE_1
v_cvt_off_f32_i4 v4, v2, src0_sel:BYTE_3
v_cvt_pk_fp8_f32 v119, v3, v4
v_lshrrev_b32 v5, 4, v2
v_cvt_off_f32_i4 v3, v5
v_cvt_off_f32_i4 v4, v5, src0_sel:BYTE_2
v_cvt_pk_fp8_f32 v118, v3, v4, op_sel:[0, 0, 1]
v_cvt_off_f32_i4 v3, v5, src0_sel:BYTE_1
v_cvt_off_f32_i4 v4, v5, src0_sel:BYTE_3
v_cvt_pk_fp8_f32 v119, v3, v4, op_sel:[0, 0, 1]

	;;#ASMEND
	; sched_barrier mask(0x00000000)
	flat_load_dwordx4 a[0:3], v[20:21] offset:384
	flat_load_dwordx4 a[4:7], v[20:21] offset:400
	;; [unrolled: 1-line block ×8, first 2 shown]
	s_movk_i32 s0, 0x80
	s_waitcnt vmcnt(0) lgkmcnt(0)
	v_mfma_f32_16x16x128_f8f6f4 a[0:3], v[128:135], v[10:17], a[0:3]
	s_nop 11
	flat_store_dwordx4 v[20:21], a[0:3] offset:384
	v_mfma_f32_16x16x128_f8f6f4 a[4:7], v[128:135], v[24:31], a[4:7]
	v_mfma_f32_16x16x128_f8f6f4 a[8:11], v[128:135], v[32:39], a[8:11]
	s_nop 10
	flat_store_dwordx4 v[20:21], a[4:7] offset:400
	v_mfma_f32_16x16x128_f8f6f4 a[12:15], v[128:135], v[48:55], a[12:15]
	; sched_group_barrier mask(0x00000008) size(4) SyncID(0)
	; sched_group_barrier mask(0x00000100) size(1) SyncID(0)
	flat_store_dwordx4 v[20:21], a[8:11] offset:416
	v_mfma_f32_16x16x128_f8f6f4 a[16:19], v[128:135], v[64:71], a[16:19]
	s_nop 9
	flat_store_dwordx4 v[20:21], a[12:15] offset:432
	v_mfma_f32_16x16x128_f8f6f4 a[20:23], v[128:135], v[80:87], a[20:23]
	flat_store_dwordx4 v[20:21], a[16:19] offset:448
	v_mfma_f32_16x16x128_f8f6f4 a[24:27], v[128:135], v[96:103], a[24:27]
	s_nop 9
	flat_store_dwordx4 v[20:21], a[20:23] offset:464
	v_mfma_f32_16x16x128_f8f6f4 a[28:31], v[128:135], v[112:119], a[28:31]
	; sched_group_barrier mask(0x00000008) size(4) SyncID(0)
	; sched_group_barrier mask(0x00000100) size(1) SyncID(0)
	flat_store_dwordx4 v[20:21], a[24:27] offset:480
	s_nop 10
	flat_store_dwordx4 v[20:21], a[28:31] offset:496
	flat_load_dwordx2 v[6:7], v[0:1] offset:1148
	flat_load_dwordx2 v[14:15], v[0:1] offset:1164
	flat_load_dwordx4 v[2:5], v[0:1] offset:1176
	flat_load_dwordx3 v[10:12], v[0:1] offset:1132
	flat_load_dwordx2 v[16:17], v[8:9]
	s_waitcnt vmcnt(0) lgkmcnt(0)
	v_sub_u32_e32 v6, v6, v15
	v_add_u32_e32 v5, 16, v5
	v_add_u32_e32 v2, v14, v2
	v_add3_u32 v3, v6, v3, s0
	v_sub_u32_e32 v13, v7, v14
	v_ashrrev_i32_e32 v6, 31, v5
	v_sub_u32_e32 v2, v7, v2
	v_ashrrev_i32_e32 v7, 31, v3
	v_lshrrev_b32_e32 v6, 28, v6
	v_lshrrev_b32_e32 v7, 29, v7
	v_sub_u32_e32 v12, v3, v12
	v_add_u32_e32 v6, v5, v6
	v_add_u32_e32 v7, v3, v7
	v_lshl_add_u32 v10, v12, 7, v10
	v_lshrrev_b32_e32 v12, 4, v6
	v_and_b32_e32 v7, -8, v7
	v_and_b32_e32 v6, -16, v6
	v_add_u32_e32 v2, v2, v12
	v_sub_u32_e32 v3, v3, v7
	v_sub_u32_e32 v5, v5, v6
	v_xor_b32_e32 v6, v3, v13
	v_xor_b32_e32 v2, v2, v3
	v_sub_u32_e32 v3, v6, v11
	v_sub_u32_e32 v6, v2, v11
	v_sub_u32_e32 v4, v10, v4
	v_lshl_add_u32 v2, v3, 4, v10
	v_lshlrev_b32_e32 v6, 4, v6
	v_ashrrev_i32_e32 v3, 31, v2
	v_add3_u32 v4, v4, v5, v6
	v_lshl_add_u64 v[2:3], v[16:17], 0, v[2:3]
	v_ashrrev_i32_e32 v5, 31, v4
	flat_load_dwordx4 v[128:131], v[2:3]
	v_lshl_add_u64 v[2:3], v[16:17], 0, v[4:5]
	flat_load_dwordx4 v[132:135], v[2:3]
	v_mov_b32_e32 v2, v196
	;;#ASMSTART
	v_cvt_off_f32_i4 v3, v2
v_cvt_off_f32_i4 v4, v2, src0_sel:BYTE_2
v_cvt_pk_fp8_f32 v10, v3, v4
v_cvt_off_f32_i4 v3, v2, src0_sel:BYTE_1
v_cvt_off_f32_i4 v4, v2, src0_sel:BYTE_3
v_cvt_pk_fp8_f32 v11, v3, v4
v_lshrrev_b32 v5, 4, v2
v_cvt_off_f32_i4 v3, v5
v_cvt_off_f32_i4 v4, v5, src0_sel:BYTE_2
v_cvt_pk_fp8_f32 v10, v3, v4, op_sel:[0, 0, 1]
v_cvt_off_f32_i4 v3, v5, src0_sel:BYTE_1
v_cvt_off_f32_i4 v4, v5, src0_sel:BYTE_3
v_cvt_pk_fp8_f32 v11, v3, v4, op_sel:[0, 0, 1]

	;;#ASMEND
	s_nop 0
	v_mov_b32_e32 v2, v197
	;;#ASMSTART
	v_cvt_off_f32_i4 v3, v2
v_cvt_off_f32_i4 v4, v2, src0_sel:BYTE_2
v_cvt_pk_fp8_f32 v12, v3, v4
v_cvt_off_f32_i4 v3, v2, src0_sel:BYTE_1
v_cvt_off_f32_i4 v4, v2, src0_sel:BYTE_3
v_cvt_pk_fp8_f32 v13, v3, v4
v_lshrrev_b32 v5, 4, v2
v_cvt_off_f32_i4 v3, v5
v_cvt_off_f32_i4 v4, v5, src0_sel:BYTE_2
v_cvt_pk_fp8_f32 v12, v3, v4, op_sel:[0, 0, 1]
v_cvt_off_f32_i4 v3, v5, src0_sel:BYTE_1
v_cvt_off_f32_i4 v4, v5, src0_sel:BYTE_3
v_cvt_pk_fp8_f32 v13, v3, v4, op_sel:[0, 0, 1]

	;;#ASMEND
	s_nop 0
	;; [unrolled: 18-line block ×31, first 2 shown]
	v_mov_b32_e32 v2, v213
	;;#ASMSTART
	v_cvt_off_f32_i4 v3, v2
v_cvt_off_f32_i4 v4, v2, src0_sel:BYTE_2
v_cvt_pk_fp8_f32 v118, v3, v4
v_cvt_off_f32_i4 v3, v2, src0_sel:BYTE_1
v_cvt_off_f32_i4 v4, v2, src0_sel:BYTE_3
v_cvt_pk_fp8_f32 v119, v3, v4
v_lshrrev_b32 v5, 4, v2
v_cvt_off_f32_i4 v3, v5
v_cvt_off_f32_i4 v4, v5, src0_sel:BYTE_2
v_cvt_pk_fp8_f32 v118, v3, v4, op_sel:[0, 0, 1]
v_cvt_off_f32_i4 v3, v5, src0_sel:BYTE_1
v_cvt_off_f32_i4 v4, v5, src0_sel:BYTE_3
v_cvt_pk_fp8_f32 v119, v3, v4, op_sel:[0, 0, 1]

	;;#ASMEND
	; sched_barrier mask(0x00000000)
	flat_load_dwordx4 a[0:3], v[20:21] offset:512
	flat_load_dwordx4 a[4:7], v[20:21] offset:528
	;; [unrolled: 1-line block ×8, first 2 shown]
	s_movk_i32 s0, 0xa0
	s_waitcnt vmcnt(0) lgkmcnt(0)
	v_mfma_f32_16x16x128_f8f6f4 a[0:3], v[128:135], v[10:17], a[0:3]
	s_nop 11
	flat_store_dwordx4 v[20:21], a[0:3] offset:512
	v_mfma_f32_16x16x128_f8f6f4 a[4:7], v[128:135], v[24:31], a[4:7]
	v_mfma_f32_16x16x128_f8f6f4 a[8:11], v[128:135], v[32:39], a[8:11]
	s_nop 10
	flat_store_dwordx4 v[20:21], a[4:7] offset:528
	v_mfma_f32_16x16x128_f8f6f4 a[12:15], v[128:135], v[48:55], a[12:15]
	; sched_group_barrier mask(0x00000008) size(4) SyncID(0)
	; sched_group_barrier mask(0x00000100) size(1) SyncID(0)
	flat_store_dwordx4 v[20:21], a[8:11] offset:544
	v_mfma_f32_16x16x128_f8f6f4 a[16:19], v[128:135], v[64:71], a[16:19]
	s_nop 9
	flat_store_dwordx4 v[20:21], a[12:15] offset:560
	v_mfma_f32_16x16x128_f8f6f4 a[20:23], v[128:135], v[80:87], a[20:23]
	flat_store_dwordx4 v[20:21], a[16:19] offset:576
	v_mfma_f32_16x16x128_f8f6f4 a[24:27], v[128:135], v[96:103], a[24:27]
	s_nop 9
	flat_store_dwordx4 v[20:21], a[20:23] offset:592
	v_mfma_f32_16x16x128_f8f6f4 a[28:31], v[128:135], v[112:119], a[28:31]
	; sched_group_barrier mask(0x00000008) size(4) SyncID(0)
	; sched_group_barrier mask(0x00000100) size(1) SyncID(0)
	flat_store_dwordx4 v[20:21], a[24:27] offset:608
	s_nop 10
	flat_store_dwordx4 v[20:21], a[28:31] offset:624
	flat_load_dwordx2 v[6:7], v[0:1] offset:1148
	flat_load_dwordx2 v[14:15], v[0:1] offset:1164
	flat_load_dwordx4 v[2:5], v[0:1] offset:1176
	flat_load_dwordx3 v[10:12], v[0:1] offset:1132
	flat_load_dwordx2 v[16:17], v[8:9]
	s_waitcnt vmcnt(0) lgkmcnt(0)
	v_sub_u32_e32 v6, v6, v15
	v_add_u32_e32 v5, 16, v5
	v_add_u32_e32 v2, v14, v2
	v_add3_u32 v3, v6, v3, s0
	v_sub_u32_e32 v13, v7, v14
	v_ashrrev_i32_e32 v6, 31, v5
	v_sub_u32_e32 v2, v7, v2
	v_ashrrev_i32_e32 v7, 31, v3
	v_lshrrev_b32_e32 v6, 28, v6
	v_lshrrev_b32_e32 v7, 29, v7
	v_sub_u32_e32 v12, v3, v12
	v_add_u32_e32 v6, v5, v6
	v_add_u32_e32 v7, v3, v7
	v_lshl_add_u32 v10, v12, 7, v10
	v_lshrrev_b32_e32 v12, 4, v6
	v_and_b32_e32 v7, -8, v7
	v_and_b32_e32 v6, -16, v6
	v_add_u32_e32 v2, v2, v12
	v_sub_u32_e32 v3, v3, v7
	v_sub_u32_e32 v5, v5, v6
	v_xor_b32_e32 v6, v3, v13
	v_xor_b32_e32 v2, v2, v3
	v_sub_u32_e32 v3, v6, v11
	v_sub_u32_e32 v6, v2, v11
	;; [unrolled: 1-line block ×3, first 2 shown]
	v_lshl_add_u32 v2, v3, 4, v10
	v_lshlrev_b32_e32 v6, 4, v6
	v_ashrrev_i32_e32 v3, 31, v2
	v_add3_u32 v4, v4, v5, v6
	v_lshl_add_u64 v[2:3], v[16:17], 0, v[2:3]
	v_ashrrev_i32_e32 v5, 31, v4
	flat_load_dwordx4 v[128:131], v[2:3]
	v_lshl_add_u64 v[2:3], v[16:17], 0, v[4:5]
	flat_load_dwordx4 v[132:135], v[2:3]
	v_mov_b32_e32 v2, v196
	;;#ASMSTART
	v_cvt_off_f32_i4 v3, v2
v_cvt_off_f32_i4 v4, v2, src0_sel:BYTE_2
v_cvt_pk_fp8_f32 v10, v3, v4
v_cvt_off_f32_i4 v3, v2, src0_sel:BYTE_1
v_cvt_off_f32_i4 v4, v2, src0_sel:BYTE_3
v_cvt_pk_fp8_f32 v11, v3, v4
v_lshrrev_b32 v5, 4, v2
v_cvt_off_f32_i4 v3, v5
v_cvt_off_f32_i4 v4, v5, src0_sel:BYTE_2
v_cvt_pk_fp8_f32 v10, v3, v4, op_sel:[0, 0, 1]
v_cvt_off_f32_i4 v3, v5, src0_sel:BYTE_1
v_cvt_off_f32_i4 v4, v5, src0_sel:BYTE_3
v_cvt_pk_fp8_f32 v11, v3, v4, op_sel:[0, 0, 1]

	;;#ASMEND
	s_nop 0
	v_mov_b32_e32 v2, v197
	;;#ASMSTART
	v_cvt_off_f32_i4 v3, v2
v_cvt_off_f32_i4 v4, v2, src0_sel:BYTE_2
v_cvt_pk_fp8_f32 v12, v3, v4
v_cvt_off_f32_i4 v3, v2, src0_sel:BYTE_1
v_cvt_off_f32_i4 v4, v2, src0_sel:BYTE_3
v_cvt_pk_fp8_f32 v13, v3, v4
v_lshrrev_b32 v5, 4, v2
v_cvt_off_f32_i4 v3, v5
v_cvt_off_f32_i4 v4, v5, src0_sel:BYTE_2
v_cvt_pk_fp8_f32 v12, v3, v4, op_sel:[0, 0, 1]
v_cvt_off_f32_i4 v3, v5, src0_sel:BYTE_1
v_cvt_off_f32_i4 v4, v5, src0_sel:BYTE_3
v_cvt_pk_fp8_f32 v13, v3, v4, op_sel:[0, 0, 1]

	;;#ASMEND
	s_nop 0
	;; [unrolled: 18-line block ×31, first 2 shown]
	v_mov_b32_e32 v2, v213
	;;#ASMSTART
	v_cvt_off_f32_i4 v3, v2
v_cvt_off_f32_i4 v4, v2, src0_sel:BYTE_2
v_cvt_pk_fp8_f32 v118, v3, v4
v_cvt_off_f32_i4 v3, v2, src0_sel:BYTE_1
v_cvt_off_f32_i4 v4, v2, src0_sel:BYTE_3
v_cvt_pk_fp8_f32 v119, v3, v4
v_lshrrev_b32 v5, 4, v2
v_cvt_off_f32_i4 v3, v5
v_cvt_off_f32_i4 v4, v5, src0_sel:BYTE_2
v_cvt_pk_fp8_f32 v118, v3, v4, op_sel:[0, 0, 1]
v_cvt_off_f32_i4 v3, v5, src0_sel:BYTE_1
v_cvt_off_f32_i4 v4, v5, src0_sel:BYTE_3
v_cvt_pk_fp8_f32 v119, v3, v4, op_sel:[0, 0, 1]

	;;#ASMEND
	; sched_barrier mask(0x00000000)
	flat_load_dwordx4 a[0:3], v[20:21] offset:640
	flat_load_dwordx4 a[4:7], v[20:21] offset:656
	;; [unrolled: 1-line block ×8, first 2 shown]
	s_movk_i32 s0, 0xc0
	s_waitcnt vmcnt(0) lgkmcnt(0)
	v_mfma_f32_16x16x128_f8f6f4 a[0:3], v[128:135], v[10:17], a[0:3]
	s_nop 11
	flat_store_dwordx4 v[20:21], a[0:3] offset:640
	v_mfma_f32_16x16x128_f8f6f4 a[4:7], v[128:135], v[24:31], a[4:7]
	v_mfma_f32_16x16x128_f8f6f4 a[8:11], v[128:135], v[32:39], a[8:11]
	s_nop 10
	flat_store_dwordx4 v[20:21], a[4:7] offset:656
	v_mfma_f32_16x16x128_f8f6f4 a[12:15], v[128:135], v[48:55], a[12:15]
	; sched_group_barrier mask(0x00000008) size(4) SyncID(0)
	; sched_group_barrier mask(0x00000100) size(1) SyncID(0)
	flat_store_dwordx4 v[20:21], a[8:11] offset:672
	v_mfma_f32_16x16x128_f8f6f4 a[16:19], v[128:135], v[64:71], a[16:19]
	s_nop 9
	flat_store_dwordx4 v[20:21], a[12:15] offset:688
	v_mfma_f32_16x16x128_f8f6f4 a[20:23], v[128:135], v[80:87], a[20:23]
	flat_store_dwordx4 v[20:21], a[16:19] offset:704
	v_mfma_f32_16x16x128_f8f6f4 a[24:27], v[128:135], v[96:103], a[24:27]
	s_nop 9
	flat_store_dwordx4 v[20:21], a[20:23] offset:720
	v_mfma_f32_16x16x128_f8f6f4 a[28:31], v[128:135], v[112:119], a[28:31]
	; sched_group_barrier mask(0x00000008) size(4) SyncID(0)
	; sched_group_barrier mask(0x00000100) size(1) SyncID(0)
	flat_store_dwordx4 v[20:21], a[24:27] offset:736
	s_nop 10
	flat_store_dwordx4 v[20:21], a[28:31] offset:752
	flat_load_dwordx2 v[6:7], v[0:1] offset:1148
	flat_load_dwordx2 v[14:15], v[0:1] offset:1164
	flat_load_dwordx4 v[2:5], v[0:1] offset:1176
	flat_load_dwordx3 v[10:12], v[0:1] offset:1132
	flat_load_dwordx2 v[16:17], v[8:9]
	s_waitcnt vmcnt(0) lgkmcnt(0)
	v_sub_u32_e32 v6, v6, v15
	v_add_u32_e32 v5, 16, v5
	v_add_u32_e32 v2, v14, v2
	v_add3_u32 v3, v6, v3, s0
	v_sub_u32_e32 v13, v7, v14
	v_ashrrev_i32_e32 v6, 31, v5
	v_sub_u32_e32 v2, v7, v2
	v_ashrrev_i32_e32 v7, 31, v3
	v_lshrrev_b32_e32 v6, 28, v6
	v_lshrrev_b32_e32 v7, 29, v7
	v_sub_u32_e32 v12, v3, v12
	v_add_u32_e32 v6, v5, v6
	v_add_u32_e32 v7, v3, v7
	v_lshl_add_u32 v10, v12, 7, v10
	v_lshrrev_b32_e32 v12, 4, v6
	v_and_b32_e32 v7, -8, v7
	v_and_b32_e32 v6, -16, v6
	v_add_u32_e32 v2, v2, v12
	v_sub_u32_e32 v3, v3, v7
	v_sub_u32_e32 v5, v5, v6
	v_xor_b32_e32 v6, v3, v13
	v_xor_b32_e32 v2, v2, v3
	v_sub_u32_e32 v3, v6, v11
	v_sub_u32_e32 v6, v2, v11
	;; [unrolled: 1-line block ×3, first 2 shown]
	v_lshl_add_u32 v2, v3, 4, v10
	v_lshlrev_b32_e32 v6, 4, v6
	v_ashrrev_i32_e32 v3, 31, v2
	v_add3_u32 v4, v4, v5, v6
	v_lshl_add_u64 v[2:3], v[16:17], 0, v[2:3]
	v_ashrrev_i32_e32 v5, 31, v4
	flat_load_dwordx4 v[128:131], v[2:3]
	v_lshl_add_u64 v[2:3], v[16:17], 0, v[4:5]
	flat_load_dwordx4 v[132:135], v[2:3]
	v_mov_b32_e32 v2, v196
	;;#ASMSTART
	v_cvt_off_f32_i4 v3, v2
v_cvt_off_f32_i4 v4, v2, src0_sel:BYTE_2
v_cvt_pk_fp8_f32 v10, v3, v4
v_cvt_off_f32_i4 v3, v2, src0_sel:BYTE_1
v_cvt_off_f32_i4 v4, v2, src0_sel:BYTE_3
v_cvt_pk_fp8_f32 v11, v3, v4
v_lshrrev_b32 v5, 4, v2
v_cvt_off_f32_i4 v3, v5
v_cvt_off_f32_i4 v4, v5, src0_sel:BYTE_2
v_cvt_pk_fp8_f32 v10, v3, v4, op_sel:[0, 0, 1]
v_cvt_off_f32_i4 v3, v5, src0_sel:BYTE_1
v_cvt_off_f32_i4 v4, v5, src0_sel:BYTE_3
v_cvt_pk_fp8_f32 v11, v3, v4, op_sel:[0, 0, 1]

	;;#ASMEND
	s_nop 0
	v_mov_b32_e32 v2, v197
	;;#ASMSTART
	v_cvt_off_f32_i4 v3, v2
v_cvt_off_f32_i4 v4, v2, src0_sel:BYTE_2
v_cvt_pk_fp8_f32 v12, v3, v4
v_cvt_off_f32_i4 v3, v2, src0_sel:BYTE_1
v_cvt_off_f32_i4 v4, v2, src0_sel:BYTE_3
v_cvt_pk_fp8_f32 v13, v3, v4
v_lshrrev_b32 v5, 4, v2
v_cvt_off_f32_i4 v3, v5
v_cvt_off_f32_i4 v4, v5, src0_sel:BYTE_2
v_cvt_pk_fp8_f32 v12, v3, v4, op_sel:[0, 0, 1]
v_cvt_off_f32_i4 v3, v5, src0_sel:BYTE_1
v_cvt_off_f32_i4 v4, v5, src0_sel:BYTE_3
v_cvt_pk_fp8_f32 v13, v3, v4, op_sel:[0, 0, 1]

	;;#ASMEND
	s_nop 0
	;; [unrolled: 18-line block ×31, first 2 shown]
	v_mov_b32_e32 v2, v213
	;;#ASMSTART
	v_cvt_off_f32_i4 v3, v2
v_cvt_off_f32_i4 v4, v2, src0_sel:BYTE_2
v_cvt_pk_fp8_f32 v118, v3, v4
v_cvt_off_f32_i4 v3, v2, src0_sel:BYTE_1
v_cvt_off_f32_i4 v4, v2, src0_sel:BYTE_3
v_cvt_pk_fp8_f32 v119, v3, v4
v_lshrrev_b32 v5, 4, v2
v_cvt_off_f32_i4 v3, v5
v_cvt_off_f32_i4 v4, v5, src0_sel:BYTE_2
v_cvt_pk_fp8_f32 v118, v3, v4, op_sel:[0, 0, 1]
v_cvt_off_f32_i4 v3, v5, src0_sel:BYTE_1
v_cvt_off_f32_i4 v4, v5, src0_sel:BYTE_3
v_cvt_pk_fp8_f32 v119, v3, v4, op_sel:[0, 0, 1]

	;;#ASMEND
	; sched_barrier mask(0x00000000)
	flat_load_dwordx4 a[0:3], v[20:21] offset:768
	flat_load_dwordx4 a[4:7], v[20:21] offset:784
	;; [unrolled: 1-line block ×8, first 2 shown]
                                        ; kill: killed $vgpr0 killed $vgpr1
	s_movk_i32 s0, 0xe0
                                        ; kill: killed $vgpr8 killed $vgpr9
	s_waitcnt vmcnt(0) lgkmcnt(0)
	v_mfma_f32_16x16x128_f8f6f4 a[0:3], v[128:135], v[10:17], a[0:3]
	s_nop 11
	flat_store_dwordx4 v[20:21], a[0:3] offset:768
	v_mfma_f32_16x16x128_f8f6f4 a[4:7], v[128:135], v[24:31], a[4:7]
	v_mfma_f32_16x16x128_f8f6f4 a[8:11], v[128:135], v[32:39], a[8:11]
	s_nop 10
	flat_store_dwordx4 v[20:21], a[4:7] offset:784
	v_mfma_f32_16x16x128_f8f6f4 a[12:15], v[128:135], v[48:55], a[12:15]
	; sched_group_barrier mask(0x00000008) size(4) SyncID(0)
	; sched_group_barrier mask(0x00000100) size(1) SyncID(0)
	flat_store_dwordx4 v[20:21], a[8:11] offset:800
	v_mfma_f32_16x16x128_f8f6f4 a[16:19], v[128:135], v[64:71], a[16:19]
	s_nop 9
	flat_store_dwordx4 v[20:21], a[12:15] offset:816
	v_mfma_f32_16x16x128_f8f6f4 a[20:23], v[128:135], v[80:87], a[20:23]
	flat_store_dwordx4 v[20:21], a[16:19] offset:832
	v_mfma_f32_16x16x128_f8f6f4 a[24:27], v[128:135], v[96:103], a[24:27]
	s_nop 9
	flat_store_dwordx4 v[20:21], a[20:23] offset:848
	v_mfma_f32_16x16x128_f8f6f4 a[28:31], v[128:135], v[112:119], a[28:31]
	; sched_group_barrier mask(0x00000008) size(4) SyncID(0)
	; sched_group_barrier mask(0x00000100) size(1) SyncID(0)
	flat_store_dwordx4 v[20:21], a[24:27] offset:864
	s_nop 10
	flat_store_dwordx4 v[20:21], a[28:31] offset:880
	flat_load_dwordx2 v[6:7], v[0:1] offset:1148
	flat_load_dwordx2 v[14:15], v[0:1] offset:1164
	flat_load_dwordx4 v[2:5], v[0:1] offset:1176
	flat_load_dwordx3 v[10:12], v[0:1] offset:1132
	flat_load_dwordx2 v[16:17], v[8:9]
	s_waitcnt vmcnt(0) lgkmcnt(0)
	v_sub_u32_e32 v0, v6, v15
	v_add_u32_e32 v5, 16, v5
	v_add3_u32 v0, v0, v3, s0
	v_ashrrev_i32_e32 v3, 31, v5
	v_ashrrev_i32_e32 v6, 31, v0
	v_lshrrev_b32_e32 v3, 28, v3
	v_lshrrev_b32_e32 v6, 29, v6
	v_add_u32_e32 v2, v14, v2
	v_add_u32_e32 v3, v5, v3
	;; [unrolled: 1-line block ×3, first 2 shown]
	v_sub_u32_e32 v2, v7, v2
	v_lshrrev_b32_e32 v8, 4, v3
	v_and_b32_e32 v6, -8, v6
	v_sub_u32_e32 v1, v7, v14
	v_sub_u32_e32 v7, v0, v12
	v_add_u32_e32 v2, v2, v8
	v_sub_u32_e32 v0, v0, v6
	v_xor_b32_e32 v1, v0, v1
	v_xor_b32_e32 v0, v2, v0
	v_lshl_add_u32 v7, v7, 7, v10
	v_and_b32_e32 v3, -16, v3
	v_sub_u32_e32 v1, v1, v11
	v_sub_u32_e32 v2, v0, v11
	;; [unrolled: 1-line block ×4, first 2 shown]
	v_lshl_add_u32 v0, v1, 4, v7
	v_lshlrev_b32_e32 v2, 4, v2
	v_ashrrev_i32_e32 v1, 31, v0
	v_add3_u32 v2, v4, v3, v2
	v_lshl_add_u64 v[0:1], v[16:17], 0, v[0:1]
	v_ashrrev_i32_e32 v3, 31, v2
	flat_load_dwordx4 v[112:115], v[0:1]
	v_lshl_add_u64 v[0:1], v[16:17], 0, v[2:3]
	flat_load_dwordx4 v[116:119], v[0:1]
	;;#ASMSTART
	v_cvt_off_f32_i4 v2, v196
v_cvt_off_f32_i4 v3, v196, src0_sel:BYTE_2
v_cvt_pk_fp8_f32 v0, v2, v3
v_cvt_off_f32_i4 v2, v196, src0_sel:BYTE_1
v_cvt_off_f32_i4 v3, v196, src0_sel:BYTE_3
v_cvt_pk_fp8_f32 v1, v2, v3
v_lshrrev_b32 v4, 4, v196
v_cvt_off_f32_i4 v2, v4
v_cvt_off_f32_i4 v3, v4, src0_sel:BYTE_2
v_cvt_pk_fp8_f32 v0, v2, v3, op_sel:[0, 0, 1]
v_cvt_off_f32_i4 v2, v4, src0_sel:BYTE_1
v_cvt_off_f32_i4 v3, v4, src0_sel:BYTE_3
v_cvt_pk_fp8_f32 v1, v2, v3, op_sel:[0, 0, 1]

	;;#ASMEND
	s_nop 0
	;;#ASMSTART
	v_cvt_off_f32_i4 v4, v197
v_cvt_off_f32_i4 v5, v197, src0_sel:BYTE_2
v_cvt_pk_fp8_f32 v2, v4, v5
v_cvt_off_f32_i4 v4, v197, src0_sel:BYTE_1
v_cvt_off_f32_i4 v5, v197, src0_sel:BYTE_3
v_cvt_pk_fp8_f32 v3, v4, v5
v_lshrrev_b32 v6, 4, v197
v_cvt_off_f32_i4 v4, v6
v_cvt_off_f32_i4 v5, v6, src0_sel:BYTE_2
v_cvt_pk_fp8_f32 v2, v4, v5, op_sel:[0, 0, 1]
v_cvt_off_f32_i4 v4, v6, src0_sel:BYTE_1
v_cvt_off_f32_i4 v5, v6, src0_sel:BYTE_3
v_cvt_pk_fp8_f32 v3, v4, v5, op_sel:[0, 0, 1]

	;;#ASMEND
	s_nop 0
	;; [unrolled: 17-line block ×31, first 2 shown]
	;;#ASMSTART
	v_cvt_off_f32_i4 v16, v213
v_cvt_off_f32_i4 v17, v213, src0_sel:BYTE_2
v_cvt_pk_fp8_f32 v102, v16, v17
v_cvt_off_f32_i4 v16, v213, src0_sel:BYTE_1
v_cvt_off_f32_i4 v17, v213, src0_sel:BYTE_3
v_cvt_pk_fp8_f32 v103, v16, v17
v_lshrrev_b32 v18, 4, v213
v_cvt_off_f32_i4 v16, v18
v_cvt_off_f32_i4 v17, v18, src0_sel:BYTE_2
v_cvt_pk_fp8_f32 v102, v16, v17, op_sel:[0, 0, 1]
v_cvt_off_f32_i4 v16, v18, src0_sel:BYTE_1
v_cvt_off_f32_i4 v17, v18, src0_sel:BYTE_3
v_cvt_pk_fp8_f32 v103, v16, v17, op_sel:[0, 0, 1]

	;;#ASMEND
	; sched_barrier mask(0x00000000)
	flat_load_dwordx4 a[0:3], v[20:21] offset:896
	flat_load_dwordx4 a[4:7], v[20:21] offset:912
	;; [unrolled: 1-line block ×8, first 2 shown]
	s_waitcnt vmcnt(0) lgkmcnt(0)
	v_mfma_f32_16x16x128_f8f6f4 a[0:3], v[112:119], v[0:7], a[0:3]
	s_nop 11
	flat_store_dwordx4 v[20:21], a[0:3] offset:896
	v_mfma_f32_16x16x128_f8f6f4 a[4:7], v[112:119], v[8:15], a[4:7]
	v_mfma_f32_16x16x128_f8f6f4 a[8:11], v[112:119], v[22:29], a[8:11]
	s_nop 10
	flat_store_dwordx4 v[20:21], a[4:7] offset:912
	v_mfma_f32_16x16x128_f8f6f4 a[12:15], v[112:119], v[30:37], a[12:15]
	flat_store_dwordx4 v[20:21], a[8:11] offset:928
	v_mfma_f32_16x16x128_f8f6f4 a[16:19], v[112:119], v[48:55], a[16:19]
	s_nop 9
	flat_store_dwordx4 v[20:21], a[12:15] offset:944
	v_mfma_f32_16x16x128_f8f6f4 a[20:23], v[112:119], v[64:71], a[20:23]
	flat_store_dwordx4 v[20:21], a[16:19] offset:960
	;; [unrolled: 5-line block ×3, first 2 shown]
	s_nop 10
	flat_store_dwordx4 v[20:21], a[28:31] offset:1008
	s_waitcnt vmcnt(0) lgkmcnt(0)
	s_setpc_b64 s[30:31]
.Lfunc_end1:
	.size	_ZNK2ck52BlockwiseGemmXdlops_pipeline_bpreshuffle_bdequant_v3ILNS_26BlockGemmPipelineSchedulerE0ELi256ENS_9f8_fnuz_tENS_7pk_i4_tES2_fNS_16TensorDescriptorINS_5TupleIJNS_5EmbedINS5_IJNS_17integral_constantIiLi8EEENS7_IiLi256EEENS7_IiLi16EEEEEENS5_IJSA_NS7_IiLi128EEENS7_IiLi1EEEEEELb0EEENS_3XorINS5_IJS9_S8_EEELb1EEENS_11PassThroughISA_EENS_7UnMergeINS5_IJS8_SD_EEELb0EEENSJ_IS9_EESK_NSJ_IS8_EENS_21Merge_v3_division_modINS5_IJS9_SD_EEEEESK_EEENS5_IJNS_8SequenceIJLi0EEEENSU_IJLi2ELi1EEEENSU_IJLi3EEEENSU_IJLi5EEEENSU_IJLi4EEEENSU_IJLi6EEEENSU_IJLi7EEEENSU_IJLi9ELi8EEEENSU_IJLi10EEEEEEENS5_IJNSU_IJLi1ELi2ELi3EEEENSU_IJLi4ELi5EEEES10_NSU_IJLi7ELi8EEEENSU_IJLi9EEEES13_NSU_IJLi11EEEENSU_IJLi12EEEENSU_IJLi13EEEEEEENSU_IJLi11ELi12ELi13EEEENS7_IlLl32768EEEEENS4_INS5_IJNSL_INS5_IJS8_SD_SD_NS7_IiLi32EEEEEELb0EEEEEENS5_IJSV_EEENS5_IJNSU_IJLi1ELi2ELi3ELi4EEEEEEES1L_NS7_IlLl256EEEEENS4_INS5_IJSF_SI_SK_SN_SO_SK_SP_SS_SK_NSQ_INS5_IJS8_SA_EEEEENSL_INS5_IJS8_NS7_IiLi2EEESA_EEELb0EEEEEENS5_IJSV_SW_SX_SY_SZ_S10_S11_S12_S13_NSU_IJLi11ELi13EEEES1A_EEENS5_IJS15_S16_S10_S17_S18_S13_S19_S1A_S1B_NSU_IJLi14EEEENSU_IJLi15ELi16ELi17EEEEEEENSU_IJLi15ELi16ELi17ELi14EEEES1E_EENS4_INS5_IJS1I_NSQ_ISM_EES1T_EEENS5_IJSV_NSU_IJLi1ELi3EEEENSU_IJLi2EEEEEEENS5_IJS1L_SY_NSU_IJLi6ELi7ELi8EEEEEEENSU_IJLi6ELi7ELi8ELi5EEEES1N_EELi16ELi32ELi256ELi256ELi128ELi16ELi16ELi8ELi8ELi32ELb0EE3RunILb1ELNS_10TailNumberE0ENS4_INS5_IJNS6_INS5_IJiiEEENS5_IJiSD_EEELb0EEENSL_IS2E_Lb0EEENSJ_IiEEEEENS5_IJSV_S25_NSU_IJLi1EEEEEEENS5_IJNSU_IJLi1ELi2EEEENSU_IJLi3ELi4EEEESY_EEENSU_IJLi3ELi5ELi4EEEElEES1F_NS_35ThreadGroupTensorSliceTransfer_v4r1INS_15ThisThreadBlockILi256EEENS_16tensor_operation12element_wise11PassThroughES2W_LNS_25InMemoryDataOperationEnumE0ENSU_IJLi8ELi256ELi16EEEENSU_IJLi8ELi32ELi1EEEENSU_IJLi1ELi0ELi2EEEES2_S2_RKS2Q_KS1F_S30_NSU_IJLi0ELi1ELi2EEEELi2ELi2ELi16ELi16ELi1ELi1ELb0ELb1ELi2EiEENS_13DynamicBufferILNS_16AddressSpaceEnumE1EKS2_lLb1ELNS_22AmdBufferCoherenceEnumE0EiEENS5_IJNS36_ILS37_2ES2_S1E_Lb1ELS39_0EiEES3B_EEENS5_IJiiiEEENS4_INS5_IJNS6_INS5_IJiiiiEEENS5_IJiiiSD_EEELb0EEEEEES1K_S1M_S1L_lEENS_32ThreadwiseTensorSliceTransfer_v2IS3_S3_RKS3I_KS1O_NSU_IJLi8ELi1ELi1ELi32EEEENSU_IJLi1ELi2ELi0ELi3EEEELi3ELi32ELi0ELb1ELb0ELb0EEENS36_ILS37_1EKS3_lLb1ELS39_0EiEENS5_IJNS_12StaticBufferILS37_4ES3_Li256ELb1EEES3T_EEES3E_NS_25StaticBufferTupleOfVectorILS37_4EfLi64ELi4ELb1ELb0EEEEEvRKT1_RKT2_RT3_RKT4_RT5_RKT6_RKT7_RT8_RKT9_RT10_RKT11_RT12_i, .Lfunc_end1-_ZNK2ck52BlockwiseGemmXdlops_pipeline_bpreshuffle_bdequant_v3ILNS_26BlockGemmPipelineSchedulerE0ELi256ENS_9f8_fnuz_tENS_7pk_i4_tES2_fNS_16TensorDescriptorINS_5TupleIJNS_5EmbedINS5_IJNS_17integral_constantIiLi8EEENS7_IiLi256EEENS7_IiLi16EEEEEENS5_IJSA_NS7_IiLi128EEENS7_IiLi1EEEEEELb0EEENS_3XorINS5_IJS9_S8_EEELb1EEENS_11PassThroughISA_EENS_7UnMergeINS5_IJS8_SD_EEELb0EEENSJ_IS9_EESK_NSJ_IS8_EENS_21Merge_v3_division_modINS5_IJS9_SD_EEEEESK_EEENS5_IJNS_8SequenceIJLi0EEEENSU_IJLi2ELi1EEEENSU_IJLi3EEEENSU_IJLi5EEEENSU_IJLi4EEEENSU_IJLi6EEEENSU_IJLi7EEEENSU_IJLi9ELi8EEEENSU_IJLi10EEEEEEENS5_IJNSU_IJLi1ELi2ELi3EEEENSU_IJLi4ELi5EEEES10_NSU_IJLi7ELi8EEEENSU_IJLi9EEEES13_NSU_IJLi11EEEENSU_IJLi12EEEENSU_IJLi13EEEEEEENSU_IJLi11ELi12ELi13EEEENS7_IlLl32768EEEEENS4_INS5_IJNSL_INS5_IJS8_SD_SD_NS7_IiLi32EEEEEELb0EEEEEENS5_IJSV_EEENS5_IJNSU_IJLi1ELi2ELi3ELi4EEEEEEES1L_NS7_IlLl256EEEEENS4_INS5_IJSF_SI_SK_SN_SO_SK_SP_SS_SK_NSQ_INS5_IJS8_SA_EEEEENSL_INS5_IJS8_NS7_IiLi2EEESA_EEELb0EEEEEENS5_IJSV_SW_SX_SY_SZ_S10_S11_S12_S13_NSU_IJLi11ELi13EEEES1A_EEENS5_IJS15_S16_S10_S17_S18_S13_S19_S1A_S1B_NSU_IJLi14EEEENSU_IJLi15ELi16ELi17EEEEEEENSU_IJLi15ELi16ELi17ELi14EEEES1E_EENS4_INS5_IJS1I_NSQ_ISM_EES1T_EEENS5_IJSV_NSU_IJLi1ELi3EEEENSU_IJLi2EEEEEEENS5_IJS1L_SY_NSU_IJLi6ELi7ELi8EEEEEEENSU_IJLi6ELi7ELi8ELi5EEEES1N_EELi16ELi32ELi256ELi256ELi128ELi16ELi16ELi8ELi8ELi32ELb0EE3RunILb1ELNS_10TailNumberE0ENS4_INS5_IJNS6_INS5_IJiiEEENS5_IJiSD_EEELb0EEENSL_IS2E_Lb0EEENSJ_IiEEEEENS5_IJSV_S25_NSU_IJLi1EEEEEEENS5_IJNSU_IJLi1ELi2EEEENSU_IJLi3ELi4EEEESY_EEENSU_IJLi3ELi5ELi4EEEElEES1F_NS_35ThreadGroupTensorSliceTransfer_v4r1INS_15ThisThreadBlockILi256EEENS_16tensor_operation12element_wise11PassThroughES2W_LNS_25InMemoryDataOperationEnumE0ENSU_IJLi8ELi256ELi16EEEENSU_IJLi8ELi32ELi1EEEENSU_IJLi1ELi0ELi2EEEES2_S2_RKS2Q_KS1F_S30_NSU_IJLi0ELi1ELi2EEEELi2ELi2ELi16ELi16ELi1ELi1ELb0ELb1ELi2EiEENS_13DynamicBufferILNS_16AddressSpaceEnumE1EKS2_lLb1ELNS_22AmdBufferCoherenceEnumE0EiEENS5_IJNS36_ILS37_2ES2_S1E_Lb1ELS39_0EiEES3B_EEENS5_IJiiiEEENS4_INS5_IJNS6_INS5_IJiiiiEEENS5_IJiiiSD_EEELb0EEEEEES1K_S1M_S1L_lEENS_32ThreadwiseTensorSliceTransfer_v2IS3_S3_RKS3I_KS1O_NSU_IJLi8ELi1ELi1ELi32EEEENSU_IJLi1ELi2ELi0ELi3EEEELi3ELi32ELi0ELb1ELb0ELb0EEENS36_ILS37_1EKS3_lLb1ELS39_0EiEENS5_IJNS_12StaticBufferILS37_4ES3_Li256ELb1EEES3T_EEES3E_NS_25StaticBufferTupleOfVectorILS37_4EfLi64ELi4ELb1ELb0EEEEEvRKT1_RKT2_RT3_RKT4_RT5_RKT6_RKT7_RT8_RKT9_RT10_RKT11_RT12_i
                                        ; -- End function
	.set .L_ZNK2ck52BlockwiseGemmXdlops_pipeline_bpreshuffle_bdequant_v3ILNS_26BlockGemmPipelineSchedulerE0ELi256ENS_9f8_fnuz_tENS_7pk_i4_tES2_fNS_16TensorDescriptorINS_5TupleIJNS_5EmbedINS5_IJNS_17integral_constantIiLi8EEENS7_IiLi256EEENS7_IiLi16EEEEEENS5_IJSA_NS7_IiLi128EEENS7_IiLi1EEEEEELb0EEENS_3XorINS5_IJS9_S8_EEELb1EEENS_11PassThroughISA_EENS_7UnMergeINS5_IJS8_SD_EEELb0EEENSJ_IS9_EESK_NSJ_IS8_EENS_21Merge_v3_division_modINS5_IJS9_SD_EEEEESK_EEENS5_IJNS_8SequenceIJLi0EEEENSU_IJLi2ELi1EEEENSU_IJLi3EEEENSU_IJLi5EEEENSU_IJLi4EEEENSU_IJLi6EEEENSU_IJLi7EEEENSU_IJLi9ELi8EEEENSU_IJLi10EEEEEEENS5_IJNSU_IJLi1ELi2ELi3EEEENSU_IJLi4ELi5EEEES10_NSU_IJLi7ELi8EEEENSU_IJLi9EEEES13_NSU_IJLi11EEEENSU_IJLi12EEEENSU_IJLi13EEEEEEENSU_IJLi11ELi12ELi13EEEENS7_IlLl32768EEEEENS4_INS5_IJNSL_INS5_IJS8_SD_SD_NS7_IiLi32EEEEEELb0EEEEEENS5_IJSV_EEENS5_IJNSU_IJLi1ELi2ELi3ELi4EEEEEEES1L_NS7_IlLl256EEEEENS4_INS5_IJSF_SI_SK_SN_SO_SK_SP_SS_SK_NSQ_INS5_IJS8_SA_EEEEENSL_INS5_IJS8_NS7_IiLi2EEESA_EEELb0EEEEEENS5_IJSV_SW_SX_SY_SZ_S10_S11_S12_S13_NSU_IJLi11ELi13EEEES1A_EEENS5_IJS15_S16_S10_S17_S18_S13_S19_S1A_S1B_NSU_IJLi14EEEENSU_IJLi15ELi16ELi17EEEEEEENSU_IJLi15ELi16ELi17ELi14EEEES1E_EENS4_INS5_IJS1I_NSQ_ISM_EES1T_EEENS5_IJSV_NSU_IJLi1ELi3EEEENSU_IJLi2EEEEEEENS5_IJS1L_SY_NSU_IJLi6ELi7ELi8EEEEEEENSU_IJLi6ELi7ELi8ELi5EEEES1N_EELi16ELi32ELi256ELi256ELi128ELi16ELi16ELi8ELi8ELi32ELb0EE3RunILb1ELNS_10TailNumberE0ENS4_INS5_IJNS6_INS5_IJiiEEENS5_IJiSD_EEELb0EEENSL_IS2E_Lb0EEENSJ_IiEEEEENS5_IJSV_S25_NSU_IJLi1EEEEEEENS5_IJNSU_IJLi1ELi2EEEENSU_IJLi3ELi4EEEESY_EEENSU_IJLi3ELi5ELi4EEEElEES1F_NS_35ThreadGroupTensorSliceTransfer_v4r1INS_15ThisThreadBlockILi256EEENS_16tensor_operation12element_wise11PassThroughES2W_LNS_25InMemoryDataOperationEnumE0ENSU_IJLi8ELi256ELi16EEEENSU_IJLi8ELi32ELi1EEEENSU_IJLi1ELi0ELi2EEEES2_S2_RKS2Q_KS1F_S30_NSU_IJLi0ELi1ELi2EEEELi2ELi2ELi16ELi16ELi1ELi1ELb0ELb1ELi2EiEENS_13DynamicBufferILNS_16AddressSpaceEnumE1EKS2_lLb1ELNS_22AmdBufferCoherenceEnumE0EiEENS5_IJNS36_ILS37_2ES2_S1E_Lb1ELS39_0EiEES3B_EEENS5_IJiiiEEENS4_INS5_IJNS6_INS5_IJiiiiEEENS5_IJiiiSD_EEELb0EEEEEES1K_S1M_S1L_lEENS_32ThreadwiseTensorSliceTransfer_v2IS3_S3_RKS3I_KS1O_NSU_IJLi8ELi1ELi1ELi32EEEENSU_IJLi1ELi2ELi0ELi3EEEELi3ELi32ELi0ELb1ELb0ELb0EEENS36_ILS37_1EKS3_lLb1ELS39_0EiEENS5_IJNS_12StaticBufferILS37_4ES3_Li256ELb1EEES3T_EEES3E_NS_25StaticBufferTupleOfVectorILS37_4EfLi64ELi4ELb1ELb0EEEEEvRKT1_RKT2_RT3_RKT4_RT5_RKT6_RKT7_RT8_RKT9_RT10_RKT11_RT12_i.num_vgpr, 256
	.set .L_ZNK2ck52BlockwiseGemmXdlops_pipeline_bpreshuffle_bdequant_v3ILNS_26BlockGemmPipelineSchedulerE0ELi256ENS_9f8_fnuz_tENS_7pk_i4_tES2_fNS_16TensorDescriptorINS_5TupleIJNS_5EmbedINS5_IJNS_17integral_constantIiLi8EEENS7_IiLi256EEENS7_IiLi16EEEEEENS5_IJSA_NS7_IiLi128EEENS7_IiLi1EEEEEELb0EEENS_3XorINS5_IJS9_S8_EEELb1EEENS_11PassThroughISA_EENS_7UnMergeINS5_IJS8_SD_EEELb0EEENSJ_IS9_EESK_NSJ_IS8_EENS_21Merge_v3_division_modINS5_IJS9_SD_EEEEESK_EEENS5_IJNS_8SequenceIJLi0EEEENSU_IJLi2ELi1EEEENSU_IJLi3EEEENSU_IJLi5EEEENSU_IJLi4EEEENSU_IJLi6EEEENSU_IJLi7EEEENSU_IJLi9ELi8EEEENSU_IJLi10EEEEEEENS5_IJNSU_IJLi1ELi2ELi3EEEENSU_IJLi4ELi5EEEES10_NSU_IJLi7ELi8EEEENSU_IJLi9EEEES13_NSU_IJLi11EEEENSU_IJLi12EEEENSU_IJLi13EEEEEEENSU_IJLi11ELi12ELi13EEEENS7_IlLl32768EEEEENS4_INS5_IJNSL_INS5_IJS8_SD_SD_NS7_IiLi32EEEEEELb0EEEEEENS5_IJSV_EEENS5_IJNSU_IJLi1ELi2ELi3ELi4EEEEEEES1L_NS7_IlLl256EEEEENS4_INS5_IJSF_SI_SK_SN_SO_SK_SP_SS_SK_NSQ_INS5_IJS8_SA_EEEEENSL_INS5_IJS8_NS7_IiLi2EEESA_EEELb0EEEEEENS5_IJSV_SW_SX_SY_SZ_S10_S11_S12_S13_NSU_IJLi11ELi13EEEES1A_EEENS5_IJS15_S16_S10_S17_S18_S13_S19_S1A_S1B_NSU_IJLi14EEEENSU_IJLi15ELi16ELi17EEEEEEENSU_IJLi15ELi16ELi17ELi14EEEES1E_EENS4_INS5_IJS1I_NSQ_ISM_EES1T_EEENS5_IJSV_NSU_IJLi1ELi3EEEENSU_IJLi2EEEEEEENS5_IJS1L_SY_NSU_IJLi6ELi7ELi8EEEEEEENSU_IJLi6ELi7ELi8ELi5EEEES1N_EELi16ELi32ELi256ELi256ELi128ELi16ELi16ELi8ELi8ELi32ELb0EE3RunILb1ELNS_10TailNumberE0ENS4_INS5_IJNS6_INS5_IJiiEEENS5_IJiSD_EEELb0EEENSL_IS2E_Lb0EEENSJ_IiEEEEENS5_IJSV_S25_NSU_IJLi1EEEEEEENS5_IJNSU_IJLi1ELi2EEEENSU_IJLi3ELi4EEEESY_EEENSU_IJLi3ELi5ELi4EEEElEES1F_NS_35ThreadGroupTensorSliceTransfer_v4r1INS_15ThisThreadBlockILi256EEENS_16tensor_operation12element_wise11PassThroughES2W_LNS_25InMemoryDataOperationEnumE0ENSU_IJLi8ELi256ELi16EEEENSU_IJLi8ELi32ELi1EEEENSU_IJLi1ELi0ELi2EEEES2_S2_RKS2Q_KS1F_S30_NSU_IJLi0ELi1ELi2EEEELi2ELi2ELi16ELi16ELi1ELi1ELb0ELb1ELi2EiEENS_13DynamicBufferILNS_16AddressSpaceEnumE1EKS2_lLb1ELNS_22AmdBufferCoherenceEnumE0EiEENS5_IJNS36_ILS37_2ES2_S1E_Lb1ELS39_0EiEES3B_EEENS5_IJiiiEEENS4_INS5_IJNS6_INS5_IJiiiiEEENS5_IJiiiSD_EEELb0EEEEEES1K_S1M_S1L_lEENS_32ThreadwiseTensorSliceTransfer_v2IS3_S3_RKS3I_KS1O_NSU_IJLi8ELi1ELi1ELi32EEEENSU_IJLi1ELi2ELi0ELi3EEEELi3ELi32ELi0ELb1ELb0ELb0EEENS36_ILS37_1EKS3_lLb1ELS39_0EiEENS5_IJNS_12StaticBufferILS37_4ES3_Li256ELb1EEES3T_EEES3E_NS_25StaticBufferTupleOfVectorILS37_4EfLi64ELi4ELb1ELb0EEEEEvRKT1_RKT2_RT3_RKT4_RT5_RKT6_RKT7_RT8_RKT9_RT10_RKT11_RT12_i.num_agpr, 48
	.set .L_ZNK2ck52BlockwiseGemmXdlops_pipeline_bpreshuffle_bdequant_v3ILNS_26BlockGemmPipelineSchedulerE0ELi256ENS_9f8_fnuz_tENS_7pk_i4_tES2_fNS_16TensorDescriptorINS_5TupleIJNS_5EmbedINS5_IJNS_17integral_constantIiLi8EEENS7_IiLi256EEENS7_IiLi16EEEEEENS5_IJSA_NS7_IiLi128EEENS7_IiLi1EEEEEELb0EEENS_3XorINS5_IJS9_S8_EEELb1EEENS_11PassThroughISA_EENS_7UnMergeINS5_IJS8_SD_EEELb0EEENSJ_IS9_EESK_NSJ_IS8_EENS_21Merge_v3_division_modINS5_IJS9_SD_EEEEESK_EEENS5_IJNS_8SequenceIJLi0EEEENSU_IJLi2ELi1EEEENSU_IJLi3EEEENSU_IJLi5EEEENSU_IJLi4EEEENSU_IJLi6EEEENSU_IJLi7EEEENSU_IJLi9ELi8EEEENSU_IJLi10EEEEEEENS5_IJNSU_IJLi1ELi2ELi3EEEENSU_IJLi4ELi5EEEES10_NSU_IJLi7ELi8EEEENSU_IJLi9EEEES13_NSU_IJLi11EEEENSU_IJLi12EEEENSU_IJLi13EEEEEEENSU_IJLi11ELi12ELi13EEEENS7_IlLl32768EEEEENS4_INS5_IJNSL_INS5_IJS8_SD_SD_NS7_IiLi32EEEEEELb0EEEEEENS5_IJSV_EEENS5_IJNSU_IJLi1ELi2ELi3ELi4EEEEEEES1L_NS7_IlLl256EEEEENS4_INS5_IJSF_SI_SK_SN_SO_SK_SP_SS_SK_NSQ_INS5_IJS8_SA_EEEEENSL_INS5_IJS8_NS7_IiLi2EEESA_EEELb0EEEEEENS5_IJSV_SW_SX_SY_SZ_S10_S11_S12_S13_NSU_IJLi11ELi13EEEES1A_EEENS5_IJS15_S16_S10_S17_S18_S13_S19_S1A_S1B_NSU_IJLi14EEEENSU_IJLi15ELi16ELi17EEEEEEENSU_IJLi15ELi16ELi17ELi14EEEES1E_EENS4_INS5_IJS1I_NSQ_ISM_EES1T_EEENS5_IJSV_NSU_IJLi1ELi3EEEENSU_IJLi2EEEEEEENS5_IJS1L_SY_NSU_IJLi6ELi7ELi8EEEEEEENSU_IJLi6ELi7ELi8ELi5EEEES1N_EELi16ELi32ELi256ELi256ELi128ELi16ELi16ELi8ELi8ELi32ELb0EE3RunILb1ELNS_10TailNumberE0ENS4_INS5_IJNS6_INS5_IJiiEEENS5_IJiSD_EEELb0EEENSL_IS2E_Lb0EEENSJ_IiEEEEENS5_IJSV_S25_NSU_IJLi1EEEEEEENS5_IJNSU_IJLi1ELi2EEEENSU_IJLi3ELi4EEEESY_EEENSU_IJLi3ELi5ELi4EEEElEES1F_NS_35ThreadGroupTensorSliceTransfer_v4r1INS_15ThisThreadBlockILi256EEENS_16tensor_operation12element_wise11PassThroughES2W_LNS_25InMemoryDataOperationEnumE0ENSU_IJLi8ELi256ELi16EEEENSU_IJLi8ELi32ELi1EEEENSU_IJLi1ELi0ELi2EEEES2_S2_RKS2Q_KS1F_S30_NSU_IJLi0ELi1ELi2EEEELi2ELi2ELi16ELi16ELi1ELi1ELb0ELb1ELi2EiEENS_13DynamicBufferILNS_16AddressSpaceEnumE1EKS2_lLb1ELNS_22AmdBufferCoherenceEnumE0EiEENS5_IJNS36_ILS37_2ES2_S1E_Lb1ELS39_0EiEES3B_EEENS5_IJiiiEEENS4_INS5_IJNS6_INS5_IJiiiiEEENS5_IJiiiSD_EEELb0EEEEEES1K_S1M_S1L_lEENS_32ThreadwiseTensorSliceTransfer_v2IS3_S3_RKS3I_KS1O_NSU_IJLi8ELi1ELi1ELi32EEEENSU_IJLi1ELi2ELi0ELi3EEEELi3ELi32ELi0ELb1ELb0ELb0EEENS36_ILS37_1EKS3_lLb1ELS39_0EiEENS5_IJNS_12StaticBufferILS37_4ES3_Li256ELb1EEES3T_EEES3E_NS_25StaticBufferTupleOfVectorILS37_4EfLi64ELi4ELb1ELb0EEEEEvRKT1_RKT2_RT3_RKT4_RT5_RKT6_RKT7_RT8_RKT9_RT10_RKT11_RT12_i.numbered_sgpr, 32
	.set .L_ZNK2ck52BlockwiseGemmXdlops_pipeline_bpreshuffle_bdequant_v3ILNS_26BlockGemmPipelineSchedulerE0ELi256ENS_9f8_fnuz_tENS_7pk_i4_tES2_fNS_16TensorDescriptorINS_5TupleIJNS_5EmbedINS5_IJNS_17integral_constantIiLi8EEENS7_IiLi256EEENS7_IiLi16EEEEEENS5_IJSA_NS7_IiLi128EEENS7_IiLi1EEEEEELb0EEENS_3XorINS5_IJS9_S8_EEELb1EEENS_11PassThroughISA_EENS_7UnMergeINS5_IJS8_SD_EEELb0EEENSJ_IS9_EESK_NSJ_IS8_EENS_21Merge_v3_division_modINS5_IJS9_SD_EEEEESK_EEENS5_IJNS_8SequenceIJLi0EEEENSU_IJLi2ELi1EEEENSU_IJLi3EEEENSU_IJLi5EEEENSU_IJLi4EEEENSU_IJLi6EEEENSU_IJLi7EEEENSU_IJLi9ELi8EEEENSU_IJLi10EEEEEEENS5_IJNSU_IJLi1ELi2ELi3EEEENSU_IJLi4ELi5EEEES10_NSU_IJLi7ELi8EEEENSU_IJLi9EEEES13_NSU_IJLi11EEEENSU_IJLi12EEEENSU_IJLi13EEEEEEENSU_IJLi11ELi12ELi13EEEENS7_IlLl32768EEEEENS4_INS5_IJNSL_INS5_IJS8_SD_SD_NS7_IiLi32EEEEEELb0EEEEEENS5_IJSV_EEENS5_IJNSU_IJLi1ELi2ELi3ELi4EEEEEEES1L_NS7_IlLl256EEEEENS4_INS5_IJSF_SI_SK_SN_SO_SK_SP_SS_SK_NSQ_INS5_IJS8_SA_EEEEENSL_INS5_IJS8_NS7_IiLi2EEESA_EEELb0EEEEEENS5_IJSV_SW_SX_SY_SZ_S10_S11_S12_S13_NSU_IJLi11ELi13EEEES1A_EEENS5_IJS15_S16_S10_S17_S18_S13_S19_S1A_S1B_NSU_IJLi14EEEENSU_IJLi15ELi16ELi17EEEEEEENSU_IJLi15ELi16ELi17ELi14EEEES1E_EENS4_INS5_IJS1I_NSQ_ISM_EES1T_EEENS5_IJSV_NSU_IJLi1ELi3EEEENSU_IJLi2EEEEEEENS5_IJS1L_SY_NSU_IJLi6ELi7ELi8EEEEEEENSU_IJLi6ELi7ELi8ELi5EEEES1N_EELi16ELi32ELi256ELi256ELi128ELi16ELi16ELi8ELi8ELi32ELb0EE3RunILb1ELNS_10TailNumberE0ENS4_INS5_IJNS6_INS5_IJiiEEENS5_IJiSD_EEELb0EEENSL_IS2E_Lb0EEENSJ_IiEEEEENS5_IJSV_S25_NSU_IJLi1EEEEEEENS5_IJNSU_IJLi1ELi2EEEENSU_IJLi3ELi4EEEESY_EEENSU_IJLi3ELi5ELi4EEEElEES1F_NS_35ThreadGroupTensorSliceTransfer_v4r1INS_15ThisThreadBlockILi256EEENS_16tensor_operation12element_wise11PassThroughES2W_LNS_25InMemoryDataOperationEnumE0ENSU_IJLi8ELi256ELi16EEEENSU_IJLi8ELi32ELi1EEEENSU_IJLi1ELi0ELi2EEEES2_S2_RKS2Q_KS1F_S30_NSU_IJLi0ELi1ELi2EEEELi2ELi2ELi16ELi16ELi1ELi1ELb0ELb1ELi2EiEENS_13DynamicBufferILNS_16AddressSpaceEnumE1EKS2_lLb1ELNS_22AmdBufferCoherenceEnumE0EiEENS5_IJNS36_ILS37_2ES2_S1E_Lb1ELS39_0EiEES3B_EEENS5_IJiiiEEENS4_INS5_IJNS6_INS5_IJiiiiEEENS5_IJiiiSD_EEELb0EEEEEES1K_S1M_S1L_lEENS_32ThreadwiseTensorSliceTransfer_v2IS3_S3_RKS3I_KS1O_NSU_IJLi8ELi1ELi1ELi32EEEENSU_IJLi1ELi2ELi0ELi3EEEELi3ELi32ELi0ELb1ELb0ELb0EEENS36_ILS37_1EKS3_lLb1ELS39_0EiEENS5_IJNS_12StaticBufferILS37_4ES3_Li256ELb1EEES3T_EEES3E_NS_25StaticBufferTupleOfVectorILS37_4EfLi64ELi4ELb1ELb0EEEEEvRKT1_RKT2_RT3_RKT4_RT5_RKT6_RKT7_RT8_RKT9_RT10_RKT11_RT12_i.num_named_barrier, 0
	.set .L_ZNK2ck52BlockwiseGemmXdlops_pipeline_bpreshuffle_bdequant_v3ILNS_26BlockGemmPipelineSchedulerE0ELi256ENS_9f8_fnuz_tENS_7pk_i4_tES2_fNS_16TensorDescriptorINS_5TupleIJNS_5EmbedINS5_IJNS_17integral_constantIiLi8EEENS7_IiLi256EEENS7_IiLi16EEEEEENS5_IJSA_NS7_IiLi128EEENS7_IiLi1EEEEEELb0EEENS_3XorINS5_IJS9_S8_EEELb1EEENS_11PassThroughISA_EENS_7UnMergeINS5_IJS8_SD_EEELb0EEENSJ_IS9_EESK_NSJ_IS8_EENS_21Merge_v3_division_modINS5_IJS9_SD_EEEEESK_EEENS5_IJNS_8SequenceIJLi0EEEENSU_IJLi2ELi1EEEENSU_IJLi3EEEENSU_IJLi5EEEENSU_IJLi4EEEENSU_IJLi6EEEENSU_IJLi7EEEENSU_IJLi9ELi8EEEENSU_IJLi10EEEEEEENS5_IJNSU_IJLi1ELi2ELi3EEEENSU_IJLi4ELi5EEEES10_NSU_IJLi7ELi8EEEENSU_IJLi9EEEES13_NSU_IJLi11EEEENSU_IJLi12EEEENSU_IJLi13EEEEEEENSU_IJLi11ELi12ELi13EEEENS7_IlLl32768EEEEENS4_INS5_IJNSL_INS5_IJS8_SD_SD_NS7_IiLi32EEEEEELb0EEEEEENS5_IJSV_EEENS5_IJNSU_IJLi1ELi2ELi3ELi4EEEEEEES1L_NS7_IlLl256EEEEENS4_INS5_IJSF_SI_SK_SN_SO_SK_SP_SS_SK_NSQ_INS5_IJS8_SA_EEEEENSL_INS5_IJS8_NS7_IiLi2EEESA_EEELb0EEEEEENS5_IJSV_SW_SX_SY_SZ_S10_S11_S12_S13_NSU_IJLi11ELi13EEEES1A_EEENS5_IJS15_S16_S10_S17_S18_S13_S19_S1A_S1B_NSU_IJLi14EEEENSU_IJLi15ELi16ELi17EEEEEEENSU_IJLi15ELi16ELi17ELi14EEEES1E_EENS4_INS5_IJS1I_NSQ_ISM_EES1T_EEENS5_IJSV_NSU_IJLi1ELi3EEEENSU_IJLi2EEEEEEENS5_IJS1L_SY_NSU_IJLi6ELi7ELi8EEEEEEENSU_IJLi6ELi7ELi8ELi5EEEES1N_EELi16ELi32ELi256ELi256ELi128ELi16ELi16ELi8ELi8ELi32ELb0EE3RunILb1ELNS_10TailNumberE0ENS4_INS5_IJNS6_INS5_IJiiEEENS5_IJiSD_EEELb0EEENSL_IS2E_Lb0EEENSJ_IiEEEEENS5_IJSV_S25_NSU_IJLi1EEEEEEENS5_IJNSU_IJLi1ELi2EEEENSU_IJLi3ELi4EEEESY_EEENSU_IJLi3ELi5ELi4EEEElEES1F_NS_35ThreadGroupTensorSliceTransfer_v4r1INS_15ThisThreadBlockILi256EEENS_16tensor_operation12element_wise11PassThroughES2W_LNS_25InMemoryDataOperationEnumE0ENSU_IJLi8ELi256ELi16EEEENSU_IJLi8ELi32ELi1EEEENSU_IJLi1ELi0ELi2EEEES2_S2_RKS2Q_KS1F_S30_NSU_IJLi0ELi1ELi2EEEELi2ELi2ELi16ELi16ELi1ELi1ELb0ELb1ELi2EiEENS_13DynamicBufferILNS_16AddressSpaceEnumE1EKS2_lLb1ELNS_22AmdBufferCoherenceEnumE0EiEENS5_IJNS36_ILS37_2ES2_S1E_Lb1ELS39_0EiEES3B_EEENS5_IJiiiEEENS4_INS5_IJNS6_INS5_IJiiiiEEENS5_IJiiiSD_EEELb0EEEEEES1K_S1M_S1L_lEENS_32ThreadwiseTensorSliceTransfer_v2IS3_S3_RKS3I_KS1O_NSU_IJLi8ELi1ELi1ELi32EEEENSU_IJLi1ELi2ELi0ELi3EEEELi3ELi32ELi0ELb1ELb0ELb0EEENS36_ILS37_1EKS3_lLb1ELS39_0EiEENS5_IJNS_12StaticBufferILS37_4ES3_Li256ELb1EEES3T_EEES3E_NS_25StaticBufferTupleOfVectorILS37_4EfLi64ELi4ELb1ELb0EEEEEvRKT1_RKT2_RT3_RKT4_RT5_RKT6_RKT7_RT8_RKT9_RT10_RKT11_RT12_i.private_seg_size, 0
	.set .L_ZNK2ck52BlockwiseGemmXdlops_pipeline_bpreshuffle_bdequant_v3ILNS_26BlockGemmPipelineSchedulerE0ELi256ENS_9f8_fnuz_tENS_7pk_i4_tES2_fNS_16TensorDescriptorINS_5TupleIJNS_5EmbedINS5_IJNS_17integral_constantIiLi8EEENS7_IiLi256EEENS7_IiLi16EEEEEENS5_IJSA_NS7_IiLi128EEENS7_IiLi1EEEEEELb0EEENS_3XorINS5_IJS9_S8_EEELb1EEENS_11PassThroughISA_EENS_7UnMergeINS5_IJS8_SD_EEELb0EEENSJ_IS9_EESK_NSJ_IS8_EENS_21Merge_v3_division_modINS5_IJS9_SD_EEEEESK_EEENS5_IJNS_8SequenceIJLi0EEEENSU_IJLi2ELi1EEEENSU_IJLi3EEEENSU_IJLi5EEEENSU_IJLi4EEEENSU_IJLi6EEEENSU_IJLi7EEEENSU_IJLi9ELi8EEEENSU_IJLi10EEEEEEENS5_IJNSU_IJLi1ELi2ELi3EEEENSU_IJLi4ELi5EEEES10_NSU_IJLi7ELi8EEEENSU_IJLi9EEEES13_NSU_IJLi11EEEENSU_IJLi12EEEENSU_IJLi13EEEEEEENSU_IJLi11ELi12ELi13EEEENS7_IlLl32768EEEEENS4_INS5_IJNSL_INS5_IJS8_SD_SD_NS7_IiLi32EEEEEELb0EEEEEENS5_IJSV_EEENS5_IJNSU_IJLi1ELi2ELi3ELi4EEEEEEES1L_NS7_IlLl256EEEEENS4_INS5_IJSF_SI_SK_SN_SO_SK_SP_SS_SK_NSQ_INS5_IJS8_SA_EEEEENSL_INS5_IJS8_NS7_IiLi2EEESA_EEELb0EEEEEENS5_IJSV_SW_SX_SY_SZ_S10_S11_S12_S13_NSU_IJLi11ELi13EEEES1A_EEENS5_IJS15_S16_S10_S17_S18_S13_S19_S1A_S1B_NSU_IJLi14EEEENSU_IJLi15ELi16ELi17EEEEEEENSU_IJLi15ELi16ELi17ELi14EEEES1E_EENS4_INS5_IJS1I_NSQ_ISM_EES1T_EEENS5_IJSV_NSU_IJLi1ELi3EEEENSU_IJLi2EEEEEEENS5_IJS1L_SY_NSU_IJLi6ELi7ELi8EEEEEEENSU_IJLi6ELi7ELi8ELi5EEEES1N_EELi16ELi32ELi256ELi256ELi128ELi16ELi16ELi8ELi8ELi32ELb0EE3RunILb1ELNS_10TailNumberE0ENS4_INS5_IJNS6_INS5_IJiiEEENS5_IJiSD_EEELb0EEENSL_IS2E_Lb0EEENSJ_IiEEEEENS5_IJSV_S25_NSU_IJLi1EEEEEEENS5_IJNSU_IJLi1ELi2EEEENSU_IJLi3ELi4EEEESY_EEENSU_IJLi3ELi5ELi4EEEElEES1F_NS_35ThreadGroupTensorSliceTransfer_v4r1INS_15ThisThreadBlockILi256EEENS_16tensor_operation12element_wise11PassThroughES2W_LNS_25InMemoryDataOperationEnumE0ENSU_IJLi8ELi256ELi16EEEENSU_IJLi8ELi32ELi1EEEENSU_IJLi1ELi0ELi2EEEES2_S2_RKS2Q_KS1F_S30_NSU_IJLi0ELi1ELi2EEEELi2ELi2ELi16ELi16ELi1ELi1ELb0ELb1ELi2EiEENS_13DynamicBufferILNS_16AddressSpaceEnumE1EKS2_lLb1ELNS_22AmdBufferCoherenceEnumE0EiEENS5_IJNS36_ILS37_2ES2_S1E_Lb1ELS39_0EiEES3B_EEENS5_IJiiiEEENS4_INS5_IJNS6_INS5_IJiiiiEEENS5_IJiiiSD_EEELb0EEEEEES1K_S1M_S1L_lEENS_32ThreadwiseTensorSliceTransfer_v2IS3_S3_RKS3I_KS1O_NSU_IJLi8ELi1ELi1ELi32EEEENSU_IJLi1ELi2ELi0ELi3EEEELi3ELi32ELi0ELb1ELb0ELb0EEENS36_ILS37_1EKS3_lLb1ELS39_0EiEENS5_IJNS_12StaticBufferILS37_4ES3_Li256ELb1EEES3T_EEES3E_NS_25StaticBufferTupleOfVectorILS37_4EfLi64ELi4ELb1ELb0EEEEEvRKT1_RKT2_RT3_RKT4_RT5_RKT6_RKT7_RT8_RKT9_RT10_RKT11_RT12_i.uses_vcc, 1
	.set .L_ZNK2ck52BlockwiseGemmXdlops_pipeline_bpreshuffle_bdequant_v3ILNS_26BlockGemmPipelineSchedulerE0ELi256ENS_9f8_fnuz_tENS_7pk_i4_tES2_fNS_16TensorDescriptorINS_5TupleIJNS_5EmbedINS5_IJNS_17integral_constantIiLi8EEENS7_IiLi256EEENS7_IiLi16EEEEEENS5_IJSA_NS7_IiLi128EEENS7_IiLi1EEEEEELb0EEENS_3XorINS5_IJS9_S8_EEELb1EEENS_11PassThroughISA_EENS_7UnMergeINS5_IJS8_SD_EEELb0EEENSJ_IS9_EESK_NSJ_IS8_EENS_21Merge_v3_division_modINS5_IJS9_SD_EEEEESK_EEENS5_IJNS_8SequenceIJLi0EEEENSU_IJLi2ELi1EEEENSU_IJLi3EEEENSU_IJLi5EEEENSU_IJLi4EEEENSU_IJLi6EEEENSU_IJLi7EEEENSU_IJLi9ELi8EEEENSU_IJLi10EEEEEEENS5_IJNSU_IJLi1ELi2ELi3EEEENSU_IJLi4ELi5EEEES10_NSU_IJLi7ELi8EEEENSU_IJLi9EEEES13_NSU_IJLi11EEEENSU_IJLi12EEEENSU_IJLi13EEEEEEENSU_IJLi11ELi12ELi13EEEENS7_IlLl32768EEEEENS4_INS5_IJNSL_INS5_IJS8_SD_SD_NS7_IiLi32EEEEEELb0EEEEEENS5_IJSV_EEENS5_IJNSU_IJLi1ELi2ELi3ELi4EEEEEEES1L_NS7_IlLl256EEEEENS4_INS5_IJSF_SI_SK_SN_SO_SK_SP_SS_SK_NSQ_INS5_IJS8_SA_EEEEENSL_INS5_IJS8_NS7_IiLi2EEESA_EEELb0EEEEEENS5_IJSV_SW_SX_SY_SZ_S10_S11_S12_S13_NSU_IJLi11ELi13EEEES1A_EEENS5_IJS15_S16_S10_S17_S18_S13_S19_S1A_S1B_NSU_IJLi14EEEENSU_IJLi15ELi16ELi17EEEEEEENSU_IJLi15ELi16ELi17ELi14EEEES1E_EENS4_INS5_IJS1I_NSQ_ISM_EES1T_EEENS5_IJSV_NSU_IJLi1ELi3EEEENSU_IJLi2EEEEEEENS5_IJS1L_SY_NSU_IJLi6ELi7ELi8EEEEEEENSU_IJLi6ELi7ELi8ELi5EEEES1N_EELi16ELi32ELi256ELi256ELi128ELi16ELi16ELi8ELi8ELi32ELb0EE3RunILb1ELNS_10TailNumberE0ENS4_INS5_IJNS6_INS5_IJiiEEENS5_IJiSD_EEELb0EEENSL_IS2E_Lb0EEENSJ_IiEEEEENS5_IJSV_S25_NSU_IJLi1EEEEEEENS5_IJNSU_IJLi1ELi2EEEENSU_IJLi3ELi4EEEESY_EEENSU_IJLi3ELi5ELi4EEEElEES1F_NS_35ThreadGroupTensorSliceTransfer_v4r1INS_15ThisThreadBlockILi256EEENS_16tensor_operation12element_wise11PassThroughES2W_LNS_25InMemoryDataOperationEnumE0ENSU_IJLi8ELi256ELi16EEEENSU_IJLi8ELi32ELi1EEEENSU_IJLi1ELi0ELi2EEEES2_S2_RKS2Q_KS1F_S30_NSU_IJLi0ELi1ELi2EEEELi2ELi2ELi16ELi16ELi1ELi1ELb0ELb1ELi2EiEENS_13DynamicBufferILNS_16AddressSpaceEnumE1EKS2_lLb1ELNS_22AmdBufferCoherenceEnumE0EiEENS5_IJNS36_ILS37_2ES2_S1E_Lb1ELS39_0EiEES3B_EEENS5_IJiiiEEENS4_INS5_IJNS6_INS5_IJiiiiEEENS5_IJiiiSD_EEELb0EEEEEES1K_S1M_S1L_lEENS_32ThreadwiseTensorSliceTransfer_v2IS3_S3_RKS3I_KS1O_NSU_IJLi8ELi1ELi1ELi32EEEENSU_IJLi1ELi2ELi0ELi3EEEELi3ELi32ELi0ELb1ELb0ELb0EEENS36_ILS37_1EKS3_lLb1ELS39_0EiEENS5_IJNS_12StaticBufferILS37_4ES3_Li256ELb1EEES3T_EEES3E_NS_25StaticBufferTupleOfVectorILS37_4EfLi64ELi4ELb1ELb0EEEEEvRKT1_RKT2_RT3_RKT4_RT5_RKT6_RKT7_RT8_RKT9_RT10_RKT11_RT12_i.uses_flat_scratch, 0
	.set .L_ZNK2ck52BlockwiseGemmXdlops_pipeline_bpreshuffle_bdequant_v3ILNS_26BlockGemmPipelineSchedulerE0ELi256ENS_9f8_fnuz_tENS_7pk_i4_tES2_fNS_16TensorDescriptorINS_5TupleIJNS_5EmbedINS5_IJNS_17integral_constantIiLi8EEENS7_IiLi256EEENS7_IiLi16EEEEEENS5_IJSA_NS7_IiLi128EEENS7_IiLi1EEEEEELb0EEENS_3XorINS5_IJS9_S8_EEELb1EEENS_11PassThroughISA_EENS_7UnMergeINS5_IJS8_SD_EEELb0EEENSJ_IS9_EESK_NSJ_IS8_EENS_21Merge_v3_division_modINS5_IJS9_SD_EEEEESK_EEENS5_IJNS_8SequenceIJLi0EEEENSU_IJLi2ELi1EEEENSU_IJLi3EEEENSU_IJLi5EEEENSU_IJLi4EEEENSU_IJLi6EEEENSU_IJLi7EEEENSU_IJLi9ELi8EEEENSU_IJLi10EEEEEEENS5_IJNSU_IJLi1ELi2ELi3EEEENSU_IJLi4ELi5EEEES10_NSU_IJLi7ELi8EEEENSU_IJLi9EEEES13_NSU_IJLi11EEEENSU_IJLi12EEEENSU_IJLi13EEEEEEENSU_IJLi11ELi12ELi13EEEENS7_IlLl32768EEEEENS4_INS5_IJNSL_INS5_IJS8_SD_SD_NS7_IiLi32EEEEEELb0EEEEEENS5_IJSV_EEENS5_IJNSU_IJLi1ELi2ELi3ELi4EEEEEEES1L_NS7_IlLl256EEEEENS4_INS5_IJSF_SI_SK_SN_SO_SK_SP_SS_SK_NSQ_INS5_IJS8_SA_EEEEENSL_INS5_IJS8_NS7_IiLi2EEESA_EEELb0EEEEEENS5_IJSV_SW_SX_SY_SZ_S10_S11_S12_S13_NSU_IJLi11ELi13EEEES1A_EEENS5_IJS15_S16_S10_S17_S18_S13_S19_S1A_S1B_NSU_IJLi14EEEENSU_IJLi15ELi16ELi17EEEEEEENSU_IJLi15ELi16ELi17ELi14EEEES1E_EENS4_INS5_IJS1I_NSQ_ISM_EES1T_EEENS5_IJSV_NSU_IJLi1ELi3EEEENSU_IJLi2EEEEEEENS5_IJS1L_SY_NSU_IJLi6ELi7ELi8EEEEEEENSU_IJLi6ELi7ELi8ELi5EEEES1N_EELi16ELi32ELi256ELi256ELi128ELi16ELi16ELi8ELi8ELi32ELb0EE3RunILb1ELNS_10TailNumberE0ENS4_INS5_IJNS6_INS5_IJiiEEENS5_IJiSD_EEELb0EEENSL_IS2E_Lb0EEENSJ_IiEEEEENS5_IJSV_S25_NSU_IJLi1EEEEEEENS5_IJNSU_IJLi1ELi2EEEENSU_IJLi3ELi4EEEESY_EEENSU_IJLi3ELi5ELi4EEEElEES1F_NS_35ThreadGroupTensorSliceTransfer_v4r1INS_15ThisThreadBlockILi256EEENS_16tensor_operation12element_wise11PassThroughES2W_LNS_25InMemoryDataOperationEnumE0ENSU_IJLi8ELi256ELi16EEEENSU_IJLi8ELi32ELi1EEEENSU_IJLi1ELi0ELi2EEEES2_S2_RKS2Q_KS1F_S30_NSU_IJLi0ELi1ELi2EEEELi2ELi2ELi16ELi16ELi1ELi1ELb0ELb1ELi2EiEENS_13DynamicBufferILNS_16AddressSpaceEnumE1EKS2_lLb1ELNS_22AmdBufferCoherenceEnumE0EiEENS5_IJNS36_ILS37_2ES2_S1E_Lb1ELS39_0EiEES3B_EEENS5_IJiiiEEENS4_INS5_IJNS6_INS5_IJiiiiEEENS5_IJiiiSD_EEELb0EEEEEES1K_S1M_S1L_lEENS_32ThreadwiseTensorSliceTransfer_v2IS3_S3_RKS3I_KS1O_NSU_IJLi8ELi1ELi1ELi32EEEENSU_IJLi1ELi2ELi0ELi3EEEELi3ELi32ELi0ELb1ELb0ELb0EEENS36_ILS37_1EKS3_lLb1ELS39_0EiEENS5_IJNS_12StaticBufferILS37_4ES3_Li256ELb1EEES3T_EEES3E_NS_25StaticBufferTupleOfVectorILS37_4EfLi64ELi4ELb1ELb0EEEEEvRKT1_RKT2_RT3_RKT4_RT5_RKT6_RKT7_RT8_RKT9_RT10_RKT11_RT12_i.has_dyn_sized_stack, 0
	.set .L_ZNK2ck52BlockwiseGemmXdlops_pipeline_bpreshuffle_bdequant_v3ILNS_26BlockGemmPipelineSchedulerE0ELi256ENS_9f8_fnuz_tENS_7pk_i4_tES2_fNS_16TensorDescriptorINS_5TupleIJNS_5EmbedINS5_IJNS_17integral_constantIiLi8EEENS7_IiLi256EEENS7_IiLi16EEEEEENS5_IJSA_NS7_IiLi128EEENS7_IiLi1EEEEEELb0EEENS_3XorINS5_IJS9_S8_EEELb1EEENS_11PassThroughISA_EENS_7UnMergeINS5_IJS8_SD_EEELb0EEENSJ_IS9_EESK_NSJ_IS8_EENS_21Merge_v3_division_modINS5_IJS9_SD_EEEEESK_EEENS5_IJNS_8SequenceIJLi0EEEENSU_IJLi2ELi1EEEENSU_IJLi3EEEENSU_IJLi5EEEENSU_IJLi4EEEENSU_IJLi6EEEENSU_IJLi7EEEENSU_IJLi9ELi8EEEENSU_IJLi10EEEEEEENS5_IJNSU_IJLi1ELi2ELi3EEEENSU_IJLi4ELi5EEEES10_NSU_IJLi7ELi8EEEENSU_IJLi9EEEES13_NSU_IJLi11EEEENSU_IJLi12EEEENSU_IJLi13EEEEEEENSU_IJLi11ELi12ELi13EEEENS7_IlLl32768EEEEENS4_INS5_IJNSL_INS5_IJS8_SD_SD_NS7_IiLi32EEEEEELb0EEEEEENS5_IJSV_EEENS5_IJNSU_IJLi1ELi2ELi3ELi4EEEEEEES1L_NS7_IlLl256EEEEENS4_INS5_IJSF_SI_SK_SN_SO_SK_SP_SS_SK_NSQ_INS5_IJS8_SA_EEEEENSL_INS5_IJS8_NS7_IiLi2EEESA_EEELb0EEEEEENS5_IJSV_SW_SX_SY_SZ_S10_S11_S12_S13_NSU_IJLi11ELi13EEEES1A_EEENS5_IJS15_S16_S10_S17_S18_S13_S19_S1A_S1B_NSU_IJLi14EEEENSU_IJLi15ELi16ELi17EEEEEEENSU_IJLi15ELi16ELi17ELi14EEEES1E_EENS4_INS5_IJS1I_NSQ_ISM_EES1T_EEENS5_IJSV_NSU_IJLi1ELi3EEEENSU_IJLi2EEEEEEENS5_IJS1L_SY_NSU_IJLi6ELi7ELi8EEEEEEENSU_IJLi6ELi7ELi8ELi5EEEES1N_EELi16ELi32ELi256ELi256ELi128ELi16ELi16ELi8ELi8ELi32ELb0EE3RunILb1ELNS_10TailNumberE0ENS4_INS5_IJNS6_INS5_IJiiEEENS5_IJiSD_EEELb0EEENSL_IS2E_Lb0EEENSJ_IiEEEEENS5_IJSV_S25_NSU_IJLi1EEEEEEENS5_IJNSU_IJLi1ELi2EEEENSU_IJLi3ELi4EEEESY_EEENSU_IJLi3ELi5ELi4EEEElEES1F_NS_35ThreadGroupTensorSliceTransfer_v4r1INS_15ThisThreadBlockILi256EEENS_16tensor_operation12element_wise11PassThroughES2W_LNS_25InMemoryDataOperationEnumE0ENSU_IJLi8ELi256ELi16EEEENSU_IJLi8ELi32ELi1EEEENSU_IJLi1ELi0ELi2EEEES2_S2_RKS2Q_KS1F_S30_NSU_IJLi0ELi1ELi2EEEELi2ELi2ELi16ELi16ELi1ELi1ELb0ELb1ELi2EiEENS_13DynamicBufferILNS_16AddressSpaceEnumE1EKS2_lLb1ELNS_22AmdBufferCoherenceEnumE0EiEENS5_IJNS36_ILS37_2ES2_S1E_Lb1ELS39_0EiEES3B_EEENS5_IJiiiEEENS4_INS5_IJNS6_INS5_IJiiiiEEENS5_IJiiiSD_EEELb0EEEEEES1K_S1M_S1L_lEENS_32ThreadwiseTensorSliceTransfer_v2IS3_S3_RKS3I_KS1O_NSU_IJLi8ELi1ELi1ELi32EEEENSU_IJLi1ELi2ELi0ELi3EEEELi3ELi32ELi0ELb1ELb0ELb0EEENS36_ILS37_1EKS3_lLb1ELS39_0EiEENS5_IJNS_12StaticBufferILS37_4ES3_Li256ELb1EEES3T_EEES3E_NS_25StaticBufferTupleOfVectorILS37_4EfLi64ELi4ELb1ELb0EEEEEvRKT1_RKT2_RT3_RKT4_RT5_RKT6_RKT7_RT8_RKT9_RT10_RKT11_RT12_i.has_recursion, 0
	.set .L_ZNK2ck52BlockwiseGemmXdlops_pipeline_bpreshuffle_bdequant_v3ILNS_26BlockGemmPipelineSchedulerE0ELi256ENS_9f8_fnuz_tENS_7pk_i4_tES2_fNS_16TensorDescriptorINS_5TupleIJNS_5EmbedINS5_IJNS_17integral_constantIiLi8EEENS7_IiLi256EEENS7_IiLi16EEEEEENS5_IJSA_NS7_IiLi128EEENS7_IiLi1EEEEEELb0EEENS_3XorINS5_IJS9_S8_EEELb1EEENS_11PassThroughISA_EENS_7UnMergeINS5_IJS8_SD_EEELb0EEENSJ_IS9_EESK_NSJ_IS8_EENS_21Merge_v3_division_modINS5_IJS9_SD_EEEEESK_EEENS5_IJNS_8SequenceIJLi0EEEENSU_IJLi2ELi1EEEENSU_IJLi3EEEENSU_IJLi5EEEENSU_IJLi4EEEENSU_IJLi6EEEENSU_IJLi7EEEENSU_IJLi9ELi8EEEENSU_IJLi10EEEEEEENS5_IJNSU_IJLi1ELi2ELi3EEEENSU_IJLi4ELi5EEEES10_NSU_IJLi7ELi8EEEENSU_IJLi9EEEES13_NSU_IJLi11EEEENSU_IJLi12EEEENSU_IJLi13EEEEEEENSU_IJLi11ELi12ELi13EEEENS7_IlLl32768EEEEENS4_INS5_IJNSL_INS5_IJS8_SD_SD_NS7_IiLi32EEEEEELb0EEEEEENS5_IJSV_EEENS5_IJNSU_IJLi1ELi2ELi3ELi4EEEEEEES1L_NS7_IlLl256EEEEENS4_INS5_IJSF_SI_SK_SN_SO_SK_SP_SS_SK_NSQ_INS5_IJS8_SA_EEEEENSL_INS5_IJS8_NS7_IiLi2EEESA_EEELb0EEEEEENS5_IJSV_SW_SX_SY_SZ_S10_S11_S12_S13_NSU_IJLi11ELi13EEEES1A_EEENS5_IJS15_S16_S10_S17_S18_S13_S19_S1A_S1B_NSU_IJLi14EEEENSU_IJLi15ELi16ELi17EEEEEEENSU_IJLi15ELi16ELi17ELi14EEEES1E_EENS4_INS5_IJS1I_NSQ_ISM_EES1T_EEENS5_IJSV_NSU_IJLi1ELi3EEEENSU_IJLi2EEEEEEENS5_IJS1L_SY_NSU_IJLi6ELi7ELi8EEEEEEENSU_IJLi6ELi7ELi8ELi5EEEES1N_EELi16ELi32ELi256ELi256ELi128ELi16ELi16ELi8ELi8ELi32ELb0EE3RunILb1ELNS_10TailNumberE0ENS4_INS5_IJNS6_INS5_IJiiEEENS5_IJiSD_EEELb0EEENSL_IS2E_Lb0EEENSJ_IiEEEEENS5_IJSV_S25_NSU_IJLi1EEEEEEENS5_IJNSU_IJLi1ELi2EEEENSU_IJLi3ELi4EEEESY_EEENSU_IJLi3ELi5ELi4EEEElEES1F_NS_35ThreadGroupTensorSliceTransfer_v4r1INS_15ThisThreadBlockILi256EEENS_16tensor_operation12element_wise11PassThroughES2W_LNS_25InMemoryDataOperationEnumE0ENSU_IJLi8ELi256ELi16EEEENSU_IJLi8ELi32ELi1EEEENSU_IJLi1ELi0ELi2EEEES2_S2_RKS2Q_KS1F_S30_NSU_IJLi0ELi1ELi2EEEELi2ELi2ELi16ELi16ELi1ELi1ELb0ELb1ELi2EiEENS_13DynamicBufferILNS_16AddressSpaceEnumE1EKS2_lLb1ELNS_22AmdBufferCoherenceEnumE0EiEENS5_IJNS36_ILS37_2ES2_S1E_Lb1ELS39_0EiEES3B_EEENS5_IJiiiEEENS4_INS5_IJNS6_INS5_IJiiiiEEENS5_IJiiiSD_EEELb0EEEEEES1K_S1M_S1L_lEENS_32ThreadwiseTensorSliceTransfer_v2IS3_S3_RKS3I_KS1O_NSU_IJLi8ELi1ELi1ELi32EEEENSU_IJLi1ELi2ELi0ELi3EEEELi3ELi32ELi0ELb1ELb0ELb0EEENS36_ILS37_1EKS3_lLb1ELS39_0EiEENS5_IJNS_12StaticBufferILS37_4ES3_Li256ELb1EEES3T_EEES3E_NS_25StaticBufferTupleOfVectorILS37_4EfLi64ELi4ELb1ELb0EEEEEvRKT1_RKT2_RT3_RKT4_RT5_RKT6_RKT7_RT8_RKT9_RT10_RKT11_RT12_i.has_indirect_call, 0
	.section	.AMDGPU.csdata,"",@progbits
; Function info:
; codeLenInByte = 194824
; TotalNumSgprs: 38
; NumVgprs: 256
; NumAgprs: 48
; TotalNumVgprs: 304
; ScratchSize: 0
; MemoryBound: 0
	.section	.text._ZN2ck45kernel_gemm_xdl_cshuffle_v3_b_preshuffle_2ldsINS_41GridwiseGemm_xdl_cshuffle_v3_b_preshuffleINS_13tensor_layout4gemm8RowMajorENS3_11ColumnMajorES4_NS_9f8_fnuz_tENS_7pk_i4_tEfDF16_DF16_NS_16tensor_operation12element_wise11PassThroughESA_SA_LNS8_6device18GemmSpecializationE0ELi256ELi256ELi256ELi128ELi16ELi32ELi16ELi16ELi8ELi8ENS_8SequenceIJLi8ELi32ELi1EEEENSD_IJLi1ELi0ELi2EEEESF_Li2ELi16ELi16ELb0ELi0ENSD_IJLi4ELi64ELi1EEEESF_SF_Li2ELi32ELi32ELb0ELi0ELi1ELi1ENSD_IJLi1ELi32ELi1ELi8EEEELi4ELNS_26BlockGemmPipelineSchedulerE0ELNS_24BlockGemmPipelineVersionE2ES6_S6_Lb0ELb0ELi0EEELb1ELNS_25InMemoryDataOperationEnumE1ELi1ELNS_10TailNumberE0EEEvNT_8ArgumentE,"axG",@progbits,_ZN2ck45kernel_gemm_xdl_cshuffle_v3_b_preshuffle_2ldsINS_41GridwiseGemm_xdl_cshuffle_v3_b_preshuffleINS_13tensor_layout4gemm8RowMajorENS3_11ColumnMajorES4_NS_9f8_fnuz_tENS_7pk_i4_tEfDF16_DF16_NS_16tensor_operation12element_wise11PassThroughESA_SA_LNS8_6device18GemmSpecializationE0ELi256ELi256ELi256ELi128ELi16ELi32ELi16ELi16ELi8ELi8ENS_8SequenceIJLi8ELi32ELi1EEEENSD_IJLi1ELi0ELi2EEEESF_Li2ELi16ELi16ELb0ELi0ENSD_IJLi4ELi64ELi1EEEESF_SF_Li2ELi32ELi32ELb0ELi0ELi1ELi1ENSD_IJLi1ELi32ELi1ELi8EEEELi4ELNS_26BlockGemmPipelineSchedulerE0ELNS_24BlockGemmPipelineVersionE2ES6_S6_Lb0ELb0ELi0EEELb1ELNS_25InMemoryDataOperationEnumE1ELi1ELNS_10TailNumberE0EEEvNT_8ArgumentE,comdat
	.protected	_ZN2ck45kernel_gemm_xdl_cshuffle_v3_b_preshuffle_2ldsINS_41GridwiseGemm_xdl_cshuffle_v3_b_preshuffleINS_13tensor_layout4gemm8RowMajorENS3_11ColumnMajorES4_NS_9f8_fnuz_tENS_7pk_i4_tEfDF16_DF16_NS_16tensor_operation12element_wise11PassThroughESA_SA_LNS8_6device18GemmSpecializationE0ELi256ELi256ELi256ELi128ELi16ELi32ELi16ELi16ELi8ELi8ENS_8SequenceIJLi8ELi32ELi1EEEENSD_IJLi1ELi0ELi2EEEESF_Li2ELi16ELi16ELb0ELi0ENSD_IJLi4ELi64ELi1EEEESF_SF_Li2ELi32ELi32ELb0ELi0ELi1ELi1ENSD_IJLi1ELi32ELi1ELi8EEEELi4ELNS_26BlockGemmPipelineSchedulerE0ELNS_24BlockGemmPipelineVersionE2ES6_S6_Lb0ELb0ELi0EEELb1ELNS_25InMemoryDataOperationEnumE1ELi1ELNS_10TailNumberE0EEEvNT_8ArgumentE ; -- Begin function _ZN2ck45kernel_gemm_xdl_cshuffle_v3_b_preshuffle_2ldsINS_41GridwiseGemm_xdl_cshuffle_v3_b_preshuffleINS_13tensor_layout4gemm8RowMajorENS3_11ColumnMajorES4_NS_9f8_fnuz_tENS_7pk_i4_tEfDF16_DF16_NS_16tensor_operation12element_wise11PassThroughESA_SA_LNS8_6device18GemmSpecializationE0ELi256ELi256ELi256ELi128ELi16ELi32ELi16ELi16ELi8ELi8ENS_8SequenceIJLi8ELi32ELi1EEEENSD_IJLi1ELi0ELi2EEEESF_Li2ELi16ELi16ELb0ELi0ENSD_IJLi4ELi64ELi1EEEESF_SF_Li2ELi32ELi32ELb0ELi0ELi1ELi1ENSD_IJLi1ELi32ELi1ELi8EEEELi4ELNS_26BlockGemmPipelineSchedulerE0ELNS_24BlockGemmPipelineVersionE2ES6_S6_Lb0ELb0ELi0EEELb1ELNS_25InMemoryDataOperationEnumE1ELi1ELNS_10TailNumberE0EEEvNT_8ArgumentE
	.globl	_ZN2ck45kernel_gemm_xdl_cshuffle_v3_b_preshuffle_2ldsINS_41GridwiseGemm_xdl_cshuffle_v3_b_preshuffleINS_13tensor_layout4gemm8RowMajorENS3_11ColumnMajorES4_NS_9f8_fnuz_tENS_7pk_i4_tEfDF16_DF16_NS_16tensor_operation12element_wise11PassThroughESA_SA_LNS8_6device18GemmSpecializationE0ELi256ELi256ELi256ELi128ELi16ELi32ELi16ELi16ELi8ELi8ENS_8SequenceIJLi8ELi32ELi1EEEENSD_IJLi1ELi0ELi2EEEESF_Li2ELi16ELi16ELb0ELi0ENSD_IJLi4ELi64ELi1EEEESF_SF_Li2ELi32ELi32ELb0ELi0ELi1ELi1ENSD_IJLi1ELi32ELi1ELi8EEEELi4ELNS_26BlockGemmPipelineSchedulerE0ELNS_24BlockGemmPipelineVersionE2ES6_S6_Lb0ELb0ELi0EEELb1ELNS_25InMemoryDataOperationEnumE1ELi1ELNS_10TailNumberE0EEEvNT_8ArgumentE
	.p2align	8
	.type	_ZN2ck45kernel_gemm_xdl_cshuffle_v3_b_preshuffle_2ldsINS_41GridwiseGemm_xdl_cshuffle_v3_b_preshuffleINS_13tensor_layout4gemm8RowMajorENS3_11ColumnMajorES4_NS_9f8_fnuz_tENS_7pk_i4_tEfDF16_DF16_NS_16tensor_operation12element_wise11PassThroughESA_SA_LNS8_6device18GemmSpecializationE0ELi256ELi256ELi256ELi128ELi16ELi32ELi16ELi16ELi8ELi8ENS_8SequenceIJLi8ELi32ELi1EEEENSD_IJLi1ELi0ELi2EEEESF_Li2ELi16ELi16ELb0ELi0ENSD_IJLi4ELi64ELi1EEEESF_SF_Li2ELi32ELi32ELb0ELi0ELi1ELi1ENSD_IJLi1ELi32ELi1ELi8EEEELi4ELNS_26BlockGemmPipelineSchedulerE0ELNS_24BlockGemmPipelineVersionE2ES6_S6_Lb0ELb0ELi0EEELb1ELNS_25InMemoryDataOperationEnumE1ELi1ELNS_10TailNumberE0EEEvNT_8ArgumentE,@function
_ZN2ck45kernel_gemm_xdl_cshuffle_v3_b_preshuffle_2ldsINS_41GridwiseGemm_xdl_cshuffle_v3_b_preshuffleINS_13tensor_layout4gemm8RowMajorENS3_11ColumnMajorES4_NS_9f8_fnuz_tENS_7pk_i4_tEfDF16_DF16_NS_16tensor_operation12element_wise11PassThroughESA_SA_LNS8_6device18GemmSpecializationE0ELi256ELi256ELi256ELi128ELi16ELi32ELi16ELi16ELi8ELi8ENS_8SequenceIJLi8ELi32ELi1EEEENSD_IJLi1ELi0ELi2EEEESF_Li2ELi16ELi16ELb0ELi0ENSD_IJLi4ELi64ELi1EEEESF_SF_Li2ELi32ELi32ELb0ELi0ELi1ELi1ENSD_IJLi1ELi32ELi1ELi8EEEELi4ELNS_26BlockGemmPipelineSchedulerE0ELNS_24BlockGemmPipelineVersionE2ES6_S6_Lb0ELb0ELi0EEELb1ELNS_25InMemoryDataOperationEnumE1ELi1ELNS_10TailNumberE0EEEvNT_8ArgumentE: ; @_ZN2ck45kernel_gemm_xdl_cshuffle_v3_b_preshuffle_2ldsINS_41GridwiseGemm_xdl_cshuffle_v3_b_preshuffleINS_13tensor_layout4gemm8RowMajorENS3_11ColumnMajorES4_NS_9f8_fnuz_tENS_7pk_i4_tEfDF16_DF16_NS_16tensor_operation12element_wise11PassThroughESA_SA_LNS8_6device18GemmSpecializationE0ELi256ELi256ELi256ELi128ELi16ELi32ELi16ELi16ELi8ELi8ENS_8SequenceIJLi8ELi32ELi1EEEENSD_IJLi1ELi0ELi2EEEESF_Li2ELi16ELi16ELb0ELi0ENSD_IJLi4ELi64ELi1EEEESF_SF_Li2ELi32ELi32ELb0ELi0ELi1ELi1ENSD_IJLi1ELi32ELi1ELi8EEEELi4ELNS_26BlockGemmPipelineSchedulerE0ELNS_24BlockGemmPipelineVersionE2ES6_S6_Lb0ELb0ELi0EEELb1ELNS_25InMemoryDataOperationEnumE1ELi1ELNS_10TailNumberE0EEEvNT_8ArgumentE
; %bb.0:
	s_mov_b32 s24, s2
	s_load_dwordx4 s[28:31], s[0:1], 0x10
	s_load_dwordx2 s[26:27], s[0:1], 0x24
	s_load_dword s10, s[0:1], 0x68
	s_load_dword s2, s[0:1], 0x34
	;; [unrolled: 1-line block ×3, first 2 shown]
	s_load_dwordx2 s[8:9], s[0:1], 0x60
	s_load_dwordx4 s[4:7], s[0:1], 0x50
	s_waitcnt lgkmcnt(0)
	s_cmp_gt_i32 s27, 1
	s_cselect_b64 s[0:1], -1, 0
	s_bitcmp1_b32 s10, 0
	s_cselect_b64 s[10:11], -1, 0
	s_and_b64 s[0:1], s[0:1], s[10:11]
	v_mov_b32_e32 v11, v0
	s_andn2_b64 vcc, exec, s[0:1]
	s_mov_b64 s[10:11], 0
	s_movk_i32 s32, 0xcf0
	s_cbranch_vccnz .LBB2_2
; %bb.1:
	s_mul_i32 s0, s28, s3
	s_mul_i32 s10, s0, s29
	s_ashr_i32 s11, s10, 31
.LBB2_2:
	s_add_i32 s1, s27, -1
	s_mul_i32 s13, s1, s2
	s_sub_i32 s13, s30, s13
	s_mul_i32 s0, s2, s3
	s_cmp_lt_u32 s3, s1
	s_cselect_b32 s1, s2, s13
	s_ashr_i32 s2, s0, 31
	s_add_u32 s18, s4, s0
	s_addc_u32 s2, s5, s2
	s_add_i32 s0, s30, 0x7f
	s_ashr_i32 s4, s0, 31
	s_lshr_b32 s4, s4, 25
	s_add_i32 s13, s28, -1
	s_add_i32 s0, s0, s4
	s_mul_i32 s4, s13, s31
	s_add_i32 s16, s29, 15
	s_ashr_i32 s17, s0, 7
	s_ashr_i32 s5, s4, 31
	;; [unrolled: 1-line block ×3, first 2 shown]
	s_add_u32 s4, s4, s1
	s_addc_u32 s5, s5, s14
	s_mul_i32 s14, s28, s12
	s_lshl_b32 s14, s14, 4
	v_mov_b32_e32 v0, s28
	v_mov_b32_e32 v1, s1
	;; [unrolled: 1-line block ×3, first 2 shown]
	s_ashr_i32 s19, s16, 31
	v_mov_b32_e32 v4, 0
	scratch_store_dwordx3 off, v[0:2], off offset:3200
	scratch_store_dword off, v4, off offset:3212
	v_mov_b32_e32 v7, 16
	v_mov_b32_e32 v1, s14
	s_getpc_b64 s[14:15]
	s_add_u32 s14, s14, _ZN2ck41GridwiseGemm_xdl_cshuffle_v3_b_preshuffleINS_13tensor_layout4gemm8RowMajorENS2_11ColumnMajorES3_NS_9f8_fnuz_tENS_7pk_i4_tEfDF16_DF16_NS_16tensor_operation12element_wise11PassThroughES9_S9_LNS7_6device18GemmSpecializationE0ELi256ELi256ELi256ELi128ELi16ELi32ELi16ELi16ELi8ELi8ENS_8SequenceIJLi8ELi32ELi1EEEENSC_IJLi1ELi0ELi2EEEESE_Li2ELi16ELi16ELb0ELi0ENSC_IJLi4ELi64ELi1EEEESE_SE_Li2ELi32ELi32ELb0ELi0ELi1ELi1ENSC_IJLi1ELi32ELi1ELi8EEEELi4ELNS_26BlockGemmPipelineSchedulerE0ELNS_24BlockGemmPipelineVersionE2ES5_S5_Lb0ELb0ELi0EE5NWaveE@rel32@lo+4
	s_addc_u32 s15, s15, _ZN2ck41GridwiseGemm_xdl_cshuffle_v3_b_preshuffleINS_13tensor_layout4gemm8RowMajorENS2_11ColumnMajorES3_NS_9f8_fnuz_tENS_7pk_i4_tEfDF16_DF16_NS_16tensor_operation12element_wise11PassThroughES9_S9_LNS7_6device18GemmSpecializationE0ELi256ELi256ELi256ELi128ELi16ELi32ELi16ELi16ELi8ELi8ENS_8SequenceIJLi8ELi32ELi1EEEENSC_IJLi1ELi0ELi2EEEESE_Li2ELi16ELi16ELb0ELi0ENSC_IJLi4ELi64ELi1EEEESE_SE_Li2ELi32ELi32ELb0ELi0ELi1ELi1ENSC_IJLi1ELi32ELi1ELi8EEEELi4ELNS_26BlockGemmPipelineSchedulerE0ELNS_24BlockGemmPipelineVersionE2ES5_S5_Lb0ELb0ELi0EE5NWaveE@rel32@hi+12
	s_load_dword s20, s[14:15], 0x0
	s_lshr_b32 s14, s19, 27
	s_add_i32 s16, s16, s14
	s_ashr_i32 s19, s16, 5
	s_add_i32 s16, s19, -1
	s_lshl_b32 s15, s17, 12
	s_waitcnt lgkmcnt(0)
	s_add_i32 s21, s20, -1
	s_lshl_b32 s14, s17, 11
	s_mul_i32 s16, s16, s15
	s_mul_i32 s21, s21, s14
	s_add_i32 s22, s14, 0xfffff800
	s_bitset1_b32 s16, 11
	v_mov_b32_e32 v6, s12
	v_mov_b32_e32 v8, v7
	;; [unrolled: 1-line block ×3, first 2 shown]
	s_ashr_i32 s17, s21, 31
	s_ashr_i32 s23, s22, 31
	;; [unrolled: 1-line block ×3, first 2 shown]
	scratch_store_dwordx3 off, v[6:8], off offset:3216
	scratch_store_byte off, v4, off offset:3228
	scratch_store_dwordx2 off, v[0:1], off offset:3232
	v_mov_b64_e32 v[0:1], s[4:5]
	s_add_u32 s16, s16, s22
	scratch_store_dwordx2 off, v[0:1], off offset:3240
	v_mov_b32_e32 v0, s19
	v_mov_b32_e32 v1, s20
	;; [unrolled: 1-line block ×3, first 2 shown]
	s_addc_u32 s22, s25, s23
	s_mul_i32 s19, s14, s19
	scratch_store_dwordx4 off, v[0:3], off offset:3248
	s_add_u32 s16, s16, s21
	s_mul_i32 s19, s19, s20
	v_mov_b32_e32 v0, s15
	v_mov_b32_e32 v1, s14
	;; [unrolled: 1-line block ×3, first 2 shown]
	s_addc_u32 s17, s22, s17
	scratch_store_dwordx3 off, v[0:2], off offset:3264
	v_mov_b32_e32 v3, s5
	s_mov_b32 s0, 0
	v_mov_b32_e32 v0, s19
	scratch_store_dword off, v0, off offset:3280
	v_mov_b64_e32 v[0:1], s[16:17]
	scratch_store_dwordx2 off, v[0:1], off offset:3288
	v_mov_b32_e32 v0, s18
	v_mov_b32_e32 v1, s2
	;; [unrolled: 1-line block ×3, first 2 shown]
	scratch_store_dwordx4 off, v[0:3], off
	scratch_store_byte off, v4, off offset:16
	s_cmpk_lt_u32 s13, 0x100
	v_mov_b32_e32 v0, s6
	v_mov_b32_e32 v1, s7
	;; [unrolled: 1-line block ×4, first 2 shown]
	scratch_store_dwordx4 off, v[0:3], off offset:24
	scratch_store_byte off, v4, off offset:40
	s_cbranch_scc1 .LBB2_6
; %bb.3:
	s_add_i32 s2, s29, -1
	s_cmpk_lt_u32 s2, 0x100
	s_mov_b32 s2, 0
	s_cbranch_scc1 .LBB2_10
; %bb.4:
	s_add_i32 s2, s28, 0xff
	s_ashr_i32 s4, s2, 31
	s_lshr_b32 s4, s4, 24
	s_add_i32 s2, s2, s4
	s_ashr_i32 s6, s2, 8
	s_add_i32 s2, s29, 0xff
	s_ashr_i32 s4, s2, 31
	s_lshr_b32 s4, s4, 24
	s_add_i32 s2, s2, s4
	s_ashr_i32 s2, s2, 8
	s_mul_i32 s4, s2, s6
	s_add_i32 s5, s4, 7
	s_ashr_i32 s7, s5, 31
	s_lshr_b32 s7, s7, 29
	s_add_i32 s5, s5, s7
	s_ashr_i32 s7, s5, 3
	s_and_b32 s5, s5, -8
	s_sub_i32 s16, s4, s5
	s_ashr_i32 s4, s24, 31
	s_lshr_b32 s4, s4, 29
	s_add_i32 s19, s24, s4
	s_and_b32 s4, s19, -8
	s_add_i32 s16, s16, 8
	s_sub_i32 s18, s24, s4
	s_cmp_gt_i32 s18, s16
	s_cbranch_scc1 .LBB2_7
; %bb.5:
	s_mul_i32 s17, s7, s18
	s_ashr_i32 s4, s19, 3
	s_cbranch_execz .LBB2_8
	s_branch .LBB2_9
.LBB2_6:
	s_mov_b32 s25, 0
	s_branch .LBB2_11
.LBB2_7:
                                        ; implicit-def: $sgpr17
	s_ashr_i32 s4, s19, 3
.LBB2_8:
	s_add_i32 s5, s7, -1
	s_mul_i32 s5, s5, s18
	s_add_i32 s17, s16, s5
.LBB2_9:
	s_abs_i32 s5, s2
	v_cvt_f32_u32_e32 v0, s5
	s_add_i32 s4, s17, s4
	s_sub_i32 s17, 0, s5
	s_abs_i32 s16, s4
	v_rcp_iflag_f32_e32 v0, v0
	s_xor_b32 s7, s4, s2
	s_ashr_i32 s7, s7, 31
	v_mul_f32_e32 v0, 0x4f7ffffe, v0
	v_cvt_u32_f32_e32 v0, v0
	s_nop 0
	v_readfirstlane_b32 s18, v0
	s_mul_i32 s17, s17, s18
	s_mul_hi_u32 s17, s18, s17
	s_add_i32 s18, s18, s17
	s_mul_hi_u32 s17, s16, s18
	s_mul_i32 s18, s17, s5
	s_sub_i32 s16, s16, s18
	s_add_i32 s19, s17, 1
	s_sub_i32 s18, s16, s5
	s_cmp_ge_u32 s16, s5
	s_cselect_b32 s17, s19, s17
	s_cselect_b32 s16, s18, s16
	s_add_i32 s18, s17, 1
	s_cmp_ge_u32 s16, s5
	s_cselect_b32 s5, s18, s17
	s_xor_b32 s5, s5, s7
	s_lshr_b32 s16, s6, 30
	s_sub_i32 s5, s5, s7
	s_add_i32 s16, s6, s16
	s_mul_i32 s7, s5, s2
	s_sub_i32 s4, s4, s7
	s_and_b32 s7, s16, -4
	s_sub_i32 s6, s6, s7
	s_cmp_ge_i32 s5, s7
	s_cselect_b32 s6, s6, 4
	s_abs_i32 s16, s6
	v_cvt_f32_u32_e32 v0, s16
	s_ashr_i32 s7, s5, 31
	s_lshr_b32 s7, s7, 30
	s_add_i32 s7, s5, s7
	v_rcp_iflag_f32_e32 v0, v0
	s_and_b32 s7, s7, -4
	s_sub_i32 s7, s5, s7
	s_sub_i32 s18, 0, s16
	v_mul_f32_e32 v0, 0x4f7ffffe, v0
	v_cvt_u32_f32_e32 v0, v0
	s_mul_i32 s2, s7, s2
	s_add_i32 s4, s2, s4
	s_abs_i32 s17, s4
	v_readfirstlane_b32 s19, v0
	s_mul_i32 s18, s18, s19
	s_mul_hi_u32 s18, s19, s18
	s_add_i32 s19, s19, s18
	s_mul_hi_u32 s18, s17, s19
	s_mul_i32 s19, s18, s16
	s_xor_b32 s2, s4, s6
	s_sub_i32 s17, s17, s19
	s_ashr_i32 s2, s2, 31
	s_add_i32 s19, s18, 1
	s_sub_i32 s20, s17, s16
	s_cmp_ge_u32 s17, s16
	s_cselect_b32 s18, s19, s18
	s_cselect_b32 s17, s20, s17
	s_add_i32 s19, s18, 1
	s_cmp_ge_u32 s17, s16
	s_cselect_b32 s16, s19, s18
	s_xor_b32 s16, s16, s2
	s_sub_i32 s2, s16, s2
	s_mul_i32 s6, s2, s6
	s_sub_i32 s4, s4, s6
	s_add_i32 s4, s4, s5
	s_sub_i32 s24, s4, s7
.LBB2_10:
	s_mov_b32 s25, s24
	s_mov_b32 s24, s2
.LBB2_11:
	s_addk_i32 s1, 0x7f
	s_ashr_i32 s2, s1, 31
	s_lshr_b32 s2, s2, 25
	s_add_i32 s1, s1, s2
	s_ashr_i32 s4, s1, 7
	s_mov_b32 s1, s0
	s_mul_i32 s4, s4, s3
	s_mov_b32 s2, s0
	s_mov_b32 s3, s0
	v_mov_b64_e32 v[0:1], s[0:1]
	v_mov_b64_e32 v[2:3], s[2:3]
	scratch_store_short off, v4, off offset:176
	scratch_store_dwordx4 off, v[0:3], off offset:160
	scratch_store_dwordx4 off, v[0:3], off offset:144
	;; [unrolled: 1-line block ×8, first 2 shown]
	scratch_store_short off, v4, off offset:320
	scratch_store_dwordx4 off, v[0:3], off offset:192
	scratch_store_dwordx4 off, v[0:3], off offset:208
	;; [unrolled: 1-line block ×8, first 2 shown]
	scratch_store_byte off, v4, off offset:464
	scratch_store_dwordx4 off, v[0:3], off offset:448
	scratch_store_dwordx4 off, v[0:3], off offset:432
	;; [unrolled: 1-line block ×16, first 2 shown]
	scratch_store_byte off, v4, off offset:594
	scratch_store_short off, v4, off offset:736
	scratch_store_dwordx4 off, v[0:3], off offset:720
	scratch_store_dwordx4 off, v[0:3], off offset:704
	;; [unrolled: 1-line block ×8, first 2 shown]
	v_and_b32_e32 v9, 0x3f8, v11
	v_lshl_or_b32 v5, s25, 8, v9
	v_and_b32_e32 v3, 7, v11
	v_lshlrev_b32_e32 v2, 4, v3
	v_mad_u64_u32 v[0:1], s[0:1], v5, s31, v[2:3]
	s_lshl_b32 s5, s24, 3
	v_mov_b32_e32 v1, v5
	v_lshl_or_b32 v6, v9, 7, v2
	s_mov_b64 s[6:7], src_shared_base
	scratch_store_dwordx4 off, v[0:3], off offset:752
	scratch_store_dwordx3 off, v[4:6], off offset:768
	v_mov_b32_e32 v8, v3
	v_mov_b32_e32 v10, v4
	;; [unrolled: 1-line block ×7, first 2 shown]
	s_getpc_b64 s[0:1]
	s_add_u32 s0, s0, __const._ZN2ck41GridwiseGemm_xdl_cshuffle_v3_b_preshuffleINS_13tensor_layout4gemm8RowMajorENS2_11ColumnMajorES3_NS_9f8_fnuz_tENS_7pk_i4_tEfDF16_DF16_NS_16tensor_operation12element_wise11PassThroughES9_S9_LNS7_6device18GemmSpecializationE0ELi256ELi256ELi256ELi128ELi16ELi32ELi16ELi16ELi8ELi8ENS_8SequenceIJLi8ELi32ELi1EEEENSC_IJLi1ELi0ELi2EEEESE_Li2ELi16ELi16ELb0ELi0ENSC_IJLi4ELi64ELi1EEEESE_SE_Li2ELi32ELi32ELb0ELi0ELi1ELi1ENSC_IJLi1ELi32ELi1ELi8EEEELi4ELNS_26BlockGemmPipelineSchedulerE0ELNS_24BlockGemmPipelineVersionE2ES5_S5_Lb0ELb0ELi0EE8Run_2LdsIKNS_16TensorDescriptorINS_5TupleIJNS_5EmbedINSM_IJiiEEENSM_IJiNS_17integral_constantIiLi1EEEEEELb0EEENS_7UnMergeISO_Lb0EEENS_11PassThroughIiEEEEENSM_IJNSC_IJLi0EEEENSC_IJLi2EEEENSC_IJLi1EEEEEEENSM_IJNSC_IJLi1ELi2EEEENSC_IJLi3ELi4EEEENSC_IJLi5EEEEEEENSC_IJLi3ELi5ELi4EEEElEEKNSL_INSM_IJNSN_INSM_IJiiiiEEENSM_IJiiiSQ_EEELb0EEEEEENSM_IJSY_EEENSM_IJNSC_IJLi1ELi2ELi3ELi4EEEEEEES1E_lEEKNSL_INSM_IJSS_NS_8RightPadIiiLb0EEES1J_NST_INSM_IJiNSP_IiLi256EEEEEELb0EEES1M_EEENSM_IJSY_S10_SZ_NSC_IJLi3EEEENSC_IJLi4EEEEEEENSM_IJS12_S1O_S1P_NSC_IJLi5ELi6EEEENSC_IJLi7ELi8EEEEEEENSC_IJLi5ELi6ELi7ELi8EEEElEELb1ELNS_25InMemoryDataOperationEnumE1ELNS_10TailNumberE0EEEvPKS5_PKS6_PDF16_PvS24_RKNSJ_7ProblemERKT_RKT0_RKT1_i.a_block_slice_copy_step@rel32@lo+4
	s_addc_u32 s1, s1, __const._ZN2ck41GridwiseGemm_xdl_cshuffle_v3_b_preshuffleINS_13tensor_layout4gemm8RowMajorENS2_11ColumnMajorES3_NS_9f8_fnuz_tENS_7pk_i4_tEfDF16_DF16_NS_16tensor_operation12element_wise11PassThroughES9_S9_LNS7_6device18GemmSpecializationE0ELi256ELi256ELi256ELi128ELi16ELi32ELi16ELi16ELi8ELi8ENS_8SequenceIJLi8ELi32ELi1EEEENSC_IJLi1ELi0ELi2EEEESE_Li2ELi16ELi16ELb0ELi0ENSC_IJLi4ELi64ELi1EEEESE_SE_Li2ELi32ELi32ELb0ELi0ELi1ELi1ENSC_IJLi1ELi32ELi1ELi8EEEELi4ELNS_26BlockGemmPipelineSchedulerE0ELNS_24BlockGemmPipelineVersionE2ES5_S5_Lb0ELb0ELi0EE8Run_2LdsIKNS_16TensorDescriptorINS_5TupleIJNS_5EmbedINSM_IJiiEEENSM_IJiNS_17integral_constantIiLi1EEEEEELb0EEENS_7UnMergeISO_Lb0EEENS_11PassThroughIiEEEEENSM_IJNSC_IJLi0EEEENSC_IJLi2EEEENSC_IJLi1EEEEEEENSM_IJNSC_IJLi1ELi2EEEENSC_IJLi3ELi4EEEENSC_IJLi5EEEEEEENSC_IJLi3ELi5ELi4EEEElEEKNSL_INSM_IJNSN_INSM_IJiiiiEEENSM_IJiiiSQ_EEELb0EEEEEENSM_IJSY_EEENSM_IJNSC_IJLi1ELi2ELi3ELi4EEEEEEES1E_lEEKNSL_INSM_IJSS_NS_8RightPadIiiLb0EEES1J_NST_INSM_IJiNSP_IiLi256EEEEEELb0EEES1M_EEENSM_IJSY_S10_SZ_NSC_IJLi3EEEENSC_IJLi4EEEEEEENSM_IJS12_S1O_S1P_NSC_IJLi5ELi6EEEENSC_IJLi7ELi8EEEEEEENSC_IJLi5ELi6ELi7ELi8EEEElEELb1ELNS_25InMemoryDataOperationEnumE1ELNS_10TailNumberE0EEEvPKS5_PKS6_PDF16_PvS24_RKNSJ_7ProblemERKT_RKT0_RKT1_i.a_block_slice_copy_step@rel32@hi+12
	scratch_store_dwordx3 off, v[8:10], off offset:780
	scratch_store_dwordx4 off, v[0:3], off offset:792
	scratch_store_dwordx3 off, v[4:6], off offset:808
	scratch_store_dwordx3 off, v[8:10], off offset:820
	v_mov_b32_e32 v7, s7
	v_mov_b32_e32 v5, s7
	s_load_dwordx2 s[6:7], s[0:1], 0x0
	s_getpc_b64 s[16:17]
	s_add_u32 s16, s16, __const._ZN2ck41GridwiseGemm_xdl_cshuffle_v3_b_preshuffleINS_13tensor_layout4gemm8RowMajorENS2_11ColumnMajorES3_NS_9f8_fnuz_tENS_7pk_i4_tEfDF16_DF16_NS_16tensor_operation12element_wise11PassThroughES9_S9_LNS7_6device18GemmSpecializationE0ELi256ELi256ELi256ELi128ELi16ELi32ELi16ELi16ELi8ELi8ENS_8SequenceIJLi8ELi32ELi1EEEENSC_IJLi1ELi0ELi2EEEESE_Li2ELi16ELi16ELb0ELi0ENSC_IJLi4ELi64ELi1EEEESE_SE_Li2ELi32ELi32ELb0ELi0ELi1ELi1ENSC_IJLi1ELi32ELi1ELi8EEEELi4ELNS_26BlockGemmPipelineSchedulerE0ELNS_24BlockGemmPipelineVersionE2ES5_S5_Lb0ELb0ELi0EE8Run_2LdsIKNS_16TensorDescriptorINS_5TupleIJNS_5EmbedINSM_IJiiEEENSM_IJiNS_17integral_constantIiLi1EEEEEELb0EEENS_7UnMergeISO_Lb0EEENS_11PassThroughIiEEEEENSM_IJNSC_IJLi0EEEENSC_IJLi2EEEENSC_IJLi1EEEEEEENSM_IJNSC_IJLi1ELi2EEEENSC_IJLi3ELi4EEEENSC_IJLi5EEEEEEENSC_IJLi3ELi5ELi4EEEElEEKNSL_INSM_IJNSN_INSM_IJiiiiEEENSM_IJiiiSQ_EEELb0EEEEEENSM_IJSY_EEENSM_IJNSC_IJLi1ELi2ELi3ELi4EEEEEEES1E_lEEKNSL_INSM_IJSS_NS_8RightPadIiiLb0EEES1J_NST_INSM_IJiNSP_IiLi256EEEEEELb0EEES1M_EEENSM_IJSY_S10_SZ_NSC_IJLi3EEEENSC_IJLi4EEEEEEENSM_IJS12_S1O_S1P_NSC_IJLi5ELi6EEEENSC_IJLi7ELi8EEEEEEENSC_IJLi5ELi6ELi7ELi8EEEElEELb1ELNS_25InMemoryDataOperationEnumE1ELNS_10TailNumberE0EEEvPKS5_PKS6_PDF16_PvS24_RKNSJ_7ProblemERKT_RKT0_RKT1_i.b_block_slice_copy_step@rel32@lo+4
	s_addc_u32 s17, s17, __const._ZN2ck41GridwiseGemm_xdl_cshuffle_v3_b_preshuffleINS_13tensor_layout4gemm8RowMajorENS2_11ColumnMajorES3_NS_9f8_fnuz_tENS_7pk_i4_tEfDF16_DF16_NS_16tensor_operation12element_wise11PassThroughES9_S9_LNS7_6device18GemmSpecializationE0ELi256ELi256ELi256ELi128ELi16ELi32ELi16ELi16ELi8ELi8ENS_8SequenceIJLi8ELi32ELi1EEEENSC_IJLi1ELi0ELi2EEEESE_Li2ELi16ELi16ELb0ELi0ENSC_IJLi4ELi64ELi1EEEESE_SE_Li2ELi32ELi32ELb0ELi0ELi1ELi1ENSC_IJLi1ELi32ELi1ELi8EEEELi4ELNS_26BlockGemmPipelineSchedulerE0ELNS_24BlockGemmPipelineVersionE2ES5_S5_Lb0ELb0ELi0EE8Run_2LdsIKNS_16TensorDescriptorINS_5TupleIJNS_5EmbedINSM_IJiiEEENSM_IJiNS_17integral_constantIiLi1EEEEEELb0EEENS_7UnMergeISO_Lb0EEENS_11PassThroughIiEEEEENSM_IJNSC_IJLi0EEEENSC_IJLi2EEEENSC_IJLi1EEEEEEENSM_IJNSC_IJLi1ELi2EEEENSC_IJLi3ELi4EEEENSC_IJLi5EEEEEEENSC_IJLi3ELi5ELi4EEEElEEKNSL_INSM_IJNSN_INSM_IJiiiiEEENSM_IJiiiSQ_EEELb0EEEEEENSM_IJSY_EEENSM_IJNSC_IJLi1ELi2ELi3ELi4EEEEEEES1E_lEEKNSL_INSM_IJSS_NS_8RightPadIiiLb0EEES1J_NST_INSM_IJiNSP_IiLi256EEEEEELb0EEES1M_EEENSM_IJSY_S10_SZ_NSC_IJLi3EEEENSC_IJLi4EEEEEEENSM_IJS12_S1O_S1P_NSC_IJLi5ELi6EEEENSC_IJLi7ELi8EEEEEEENSC_IJLi5ELi6ELi7ELi8EEEElEELb1ELNS_25InMemoryDataOperationEnumE1ELNS_10TailNumberE0EEEvPKS5_PKS6_PDF16_PvS24_RKNSJ_7ProblemERKT_RKT0_RKT1_i.b_block_slice_copy_step@rel32@hi+12
	s_load_dwordx4 s[0:3], s[16:17], 0x0
	v_lshlrev_b32_e32 v0, 5, v11
	v_and_b32_e32 v1, 0x7e0, v0
	v_mov_b32_e32 v0, s5
	scratch_store_dword off, v0, off offset:852
	v_mov_b32_e32 v0, s4
	v_mov_b32_e32 v6, 0x8000
	scratch_store_dwordx2 off, v[0:1], off offset:860
	scratch_store_dwordx2 off, v[4:5], off offset:872
	scratch_store_byte off, v4, off offset:881
	scratch_store_dwordx2 off, v[6:7], off offset:888
	scratch_store_byte off, v4, off offset:897
	s_waitcnt lgkmcnt(0)
	v_mov_b64_e32 v[6:7], s[6:7]
	scratch_store_dwordx2 off, v[6:7], off offset:904
	v_mov_b64_e32 v[8:9], s[2:3]
	v_mov_b32_e32 v0, 0
	v_mov_b64_e32 v[6:7], s[0:1]
	s_mov_b32 s0, 1
	scratch_store_dword off, v0, off offset:912
	scratch_store_dwordx4 off, v[6:9], off offset:916
.LBB2_12:                               ; =>This Inner Loop Header: Depth=1
	s_add_i32 s1, s0, 0x3b0
	s_add_i32 s1, s1, -1
	scratch_store_byte off, v4, s1
	s_add_i32 s1, s0, 1
	s_cmpk_lt_u32 s0, 0x4d0
	s_mov_b32 s0, s1
	s_cbranch_scc1 .LBB2_12
; %bb.13:
	s_mov_b64 s[0:1], src_private_base
	s_lshl_b64 s[2:3], s[10:11], 1
	v_lshrrev_b32_e32 v0, 6, v11
	s_add_u32 s36, s8, s2
	s_mul_i32 s0, s13, s26
	s_mul_hi_u32 s27, 0, s26
	v_lshlrev_b32_e32 v2, 1, v11
	v_and_b32_e32 v0, 1, v0
	s_addc_u32 s37, s9, s3
	s_add_i32 s27, s27, s0
	s_mul_i32 s0, s5, s15
	s_lshl_b32 s2, s4, 11
	v_and_b32_e32 v15, 0x60, v2
	v_mul_lo_u32 v2, s14, v0
	v_lshrrev_b32_e32 v12, 7, v11
	v_and_b32_e32 v13, 15, v11
	v_or_b32_e32 v1, v2, v1
	s_add_i32 s0, s0, s2
	v_lshrrev_b32_e32 v9, 4, v15
	v_add_u32_e32 v1, s0, v1
	v_lshl_or_b32 v6, v12, 4, v13
	v_xor_b32_e32 v5, v9, v3
	scratch_store_dword off, v9, off offset:1996
	scratch_store_dword off, v15, off offset:2024
	;; [unrolled: 1-line block ×5, first 2 shown]
	v_lshlrev_b32_e32 v1, 7, v6
	v_lshl_or_b32 v4, v5, 4, v1
	scratch_store_dwordx3 off, v[4:6], off offset:1968
	v_mov_b32_e32 v8, v6
	v_lshl_or_b32 v2, v0, 4, v13
	v_mov_b32_e32 v4, v9
	v_mov_b32_e32 v5, v6
	v_bfe_u32 v7, v11, 4, 2
	scratch_store_dwordx2 off, v[8:9], off offset:1984
	scratch_store_dword off, v6, off offset:2004
	scratch_store_dwordx2 off, v[4:5], off offset:2012
	v_or_b32_e32 v4, v2, v15
	v_lshlrev_b32_e32 v5, 1, v7
	v_lshlrev_b32_e32 v14, 5, v4
	v_xor_b32_e32 v3, v5, v3
	scratch_store_dwordx4 off, v[12:15], off offset:2032
	scratch_store_dword off, v2, off offset:2048
	v_lshl_or_b32 v2, v3, 4, v1
	v_mov_b32_e32 v1, v13
	s_mov_b32 s4, 0
	s_ashr_i32 s0, s12, 31
	scratch_store_dwordx4 off, v[0:3], off offset:2068
	scratch_store_dword off, v6, off offset:2084
	v_mov_b32_e32 v4, v6
	v_mov_b32_e32 v0, v5
	;; [unrolled: 1-line block ×3, first 2 shown]
	s_mov_b32 s5, s4
	s_lshr_b32 s0, s0, 29
	v_lshlrev_b32_e32 v8, 5, v7
	scratch_store_dwordx2 off, v[4:5], off offset:2092
	scratch_store_dword off, v5, off offset:2104
	scratch_store_dword off, v6, off offset:2112
	scratch_store_dwordx2 off, v[0:1], off offset:2120
	scratch_store_dword off, v8, off offset:2132
	scratch_store_dwordx2 off, v[12:13], off offset:2140
	scratch_store_dwordx2 off, v[12:13], off offset:2152
	s_mov_b32 s6, s4
	s_mov_b32 s7, s4
	v_mov_b64_e32 v[0:1], s[4:5]
	s_add_i32 s12, s12, s0
	v_mov_b64_e32 v[2:3], s[6:7]
	s_ashr_i32 s0, s12, 3
	v_accvgpr_write_b32 a49, v13
	scratch_store_dword off, v7, off offset:2164
	scratch_store_dwordx4 off, v[0:3], off offset:3184
	scratch_store_dwordx4 off, v[0:3], off offset:3168
	;; [unrolled: 1-line block ×64, first 2 shown]
	s_getpc_b64 s[2:3]
	s_add_u32 s2, s2, _ZNK2ck52BlockwiseGemmXdlops_pipeline_bpreshuffle_bdequant_v3ILNS_26BlockGemmPipelineSchedulerE0ELi256ENS_9f8_fnuz_tENS_7pk_i4_tES2_fNS_16TensorDescriptorINS_5TupleIJNS_5EmbedINS5_IJNS_17integral_constantIiLi8EEENS7_IiLi256EEENS7_IiLi16EEEEEENS5_IJSA_NS7_IiLi128EEENS7_IiLi1EEEEEELb0EEENS_3XorINS5_IJS9_S8_EEELb1EEENS_11PassThroughISA_EENS_7UnMergeINS5_IJS8_SD_EEELb0EEENSJ_IS9_EESK_NSJ_IS8_EENS_21Merge_v3_division_modINS5_IJS9_SD_EEEEESK_EEENS5_IJNS_8SequenceIJLi0EEEENSU_IJLi2ELi1EEEENSU_IJLi3EEEENSU_IJLi5EEEENSU_IJLi4EEEENSU_IJLi6EEEENSU_IJLi7EEEENSU_IJLi9ELi8EEEENSU_IJLi10EEEEEEENS5_IJNSU_IJLi1ELi2ELi3EEEENSU_IJLi4ELi5EEEES10_NSU_IJLi7ELi8EEEENSU_IJLi9EEEES13_NSU_IJLi11EEEENSU_IJLi12EEEENSU_IJLi13EEEEEEENSU_IJLi11ELi12ELi13EEEENS7_IlLl32768EEEEENS4_INS5_IJNSL_INS5_IJS8_SD_SD_NS7_IiLi32EEEEEELb0EEEEEENS5_IJSV_EEENS5_IJNSU_IJLi1ELi2ELi3ELi4EEEEEEES1L_NS7_IlLl256EEEEENS4_INS5_IJSF_SI_SK_SN_SO_SK_SP_SS_SK_NSQ_INS5_IJS8_SA_EEEEENSL_INS5_IJS8_NS7_IiLi2EEESA_EEELb0EEEEEENS5_IJSV_SW_SX_SY_SZ_S10_S11_S12_S13_NSU_IJLi11ELi13EEEES1A_EEENS5_IJS15_S16_S10_S17_S18_S13_S19_S1A_S1B_NSU_IJLi14EEEENSU_IJLi15ELi16ELi17EEEEEEENSU_IJLi15ELi16ELi17ELi14EEEES1E_EENS4_INS5_IJS1I_NSQ_ISM_EES1T_EEENS5_IJSV_NSU_IJLi1ELi3EEEENSU_IJLi2EEEEEEENS5_IJS1L_SY_NSU_IJLi6ELi7ELi8EEEEEEENSU_IJLi6ELi7ELi8ELi5EEEES1N_EELi16ELi32ELi256ELi256ELi128ELi16ELi16ELi8ELi8ELi32ELb0EE3RunILb1ELNS_10TailNumberE0ENS4_INS5_IJNS6_INS5_IJiiEEENS5_IJiSD_EEELb0EEENSL_IS2E_Lb0EEENSJ_IiEEEEENS5_IJSV_S25_NSU_IJLi1EEEEEEENS5_IJNSU_IJLi1ELi2EEEENSU_IJLi3ELi4EEEESY_EEENSU_IJLi3ELi5ELi4EEEElEES1F_NS_35ThreadGroupTensorSliceTransfer_v4r1INS_15ThisThreadBlockILi256EEENS_16tensor_operation12element_wise11PassThroughES2W_LNS_25InMemoryDataOperationEnumE0ENSU_IJLi8ELi256ELi16EEEENSU_IJLi8ELi32ELi1EEEENSU_IJLi1ELi0ELi2EEEES2_S2_RKS2Q_KS1F_S30_NSU_IJLi0ELi1ELi2EEEELi2ELi2ELi16ELi16ELi1ELi1ELb0ELb1ELi2EiEENS_13DynamicBufferILNS_16AddressSpaceEnumE1EKS2_lLb1ELNS_22AmdBufferCoherenceEnumE0EiEENS5_IJNS36_ILS37_2ES2_S1E_Lb1ELS39_0EiEES3B_EEENS5_IJiiiEEENS4_INS5_IJNS6_INS5_IJiiiiEEENS5_IJiiiSD_EEELb0EEEEEES1K_S1M_S1L_lEENS_32ThreadwiseTensorSliceTransfer_v2IS3_S3_RKS3I_KS1O_NSU_IJLi8ELi1ELi1ELi32EEEENSU_IJLi1ELi2ELi0ELi3EEEELi3ELi32ELi0ELb1ELb0ELb0EEENS36_ILS37_1EKS3_lLb1ELS39_0EiEENS5_IJNS_12StaticBufferILS37_4ES3_Li256ELb1EEES3T_EEES3E_NS_25StaticBufferTupleOfVectorILS37_4EfLi64ELi4ELb1ELb0EEEEEvRKT1_RKT2_RT3_RKT4_RT5_RKT6_RKT7_RT8_RKT9_RT10_RKT11_RT12_i@rel32@lo+4
	s_addc_u32 s3, s3, _ZNK2ck52BlockwiseGemmXdlops_pipeline_bpreshuffle_bdequant_v3ILNS_26BlockGemmPipelineSchedulerE0ELi256ENS_9f8_fnuz_tENS_7pk_i4_tES2_fNS_16TensorDescriptorINS_5TupleIJNS_5EmbedINS5_IJNS_17integral_constantIiLi8EEENS7_IiLi256EEENS7_IiLi16EEEEEENS5_IJSA_NS7_IiLi128EEENS7_IiLi1EEEEEELb0EEENS_3XorINS5_IJS9_S8_EEELb1EEENS_11PassThroughISA_EENS_7UnMergeINS5_IJS8_SD_EEELb0EEENSJ_IS9_EESK_NSJ_IS8_EENS_21Merge_v3_division_modINS5_IJS9_SD_EEEEESK_EEENS5_IJNS_8SequenceIJLi0EEEENSU_IJLi2ELi1EEEENSU_IJLi3EEEENSU_IJLi5EEEENSU_IJLi4EEEENSU_IJLi6EEEENSU_IJLi7EEEENSU_IJLi9ELi8EEEENSU_IJLi10EEEEEEENS5_IJNSU_IJLi1ELi2ELi3EEEENSU_IJLi4ELi5EEEES10_NSU_IJLi7ELi8EEEENSU_IJLi9EEEES13_NSU_IJLi11EEEENSU_IJLi12EEEENSU_IJLi13EEEEEEENSU_IJLi11ELi12ELi13EEEENS7_IlLl32768EEEEENS4_INS5_IJNSL_INS5_IJS8_SD_SD_NS7_IiLi32EEEEEELb0EEEEEENS5_IJSV_EEENS5_IJNSU_IJLi1ELi2ELi3ELi4EEEEEEES1L_NS7_IlLl256EEEEENS4_INS5_IJSF_SI_SK_SN_SO_SK_SP_SS_SK_NSQ_INS5_IJS8_SA_EEEEENSL_INS5_IJS8_NS7_IiLi2EEESA_EEELb0EEEEEENS5_IJSV_SW_SX_SY_SZ_S10_S11_S12_S13_NSU_IJLi11ELi13EEEES1A_EEENS5_IJS15_S16_S10_S17_S18_S13_S19_S1A_S1B_NSU_IJLi14EEEENSU_IJLi15ELi16ELi17EEEEEEENSU_IJLi15ELi16ELi17ELi14EEEES1E_EENS4_INS5_IJS1I_NSQ_ISM_EES1T_EEENS5_IJSV_NSU_IJLi1ELi3EEEENSU_IJLi2EEEEEEENS5_IJS1L_SY_NSU_IJLi6ELi7ELi8EEEEEEENSU_IJLi6ELi7ELi8ELi5EEEES1N_EELi16ELi32ELi256ELi256ELi128ELi16ELi16ELi8ELi8ELi32ELb0EE3RunILb1ELNS_10TailNumberE0ENS4_INS5_IJNS6_INS5_IJiiEEENS5_IJiSD_EEELb0EEENSL_IS2E_Lb0EEENSJ_IiEEEEENS5_IJSV_S25_NSU_IJLi1EEEEEEENS5_IJNSU_IJLi1ELi2EEEENSU_IJLi3ELi4EEEESY_EEENSU_IJLi3ELi5ELi4EEEElEES1F_NS_35ThreadGroupTensorSliceTransfer_v4r1INS_15ThisThreadBlockILi256EEENS_16tensor_operation12element_wise11PassThroughES2W_LNS_25InMemoryDataOperationEnumE0ENSU_IJLi8ELi256ELi16EEEENSU_IJLi8ELi32ELi1EEEENSU_IJLi1ELi0ELi2EEEES2_S2_RKS2Q_KS1F_S30_NSU_IJLi0ELi1ELi2EEEELi2ELi2ELi16ELi16ELi1ELi1ELb0ELb1ELi2EiEENS_13DynamicBufferILNS_16AddressSpaceEnumE1EKS2_lLb1ELNS_22AmdBufferCoherenceEnumE0EiEENS5_IJNS36_ILS37_2ES2_S1E_Lb1ELS39_0EiEES3B_EEENS5_IJiiiEEENS4_INS5_IJNS6_INS5_IJiiiiEEENS5_IJiiiSD_EEELb0EEEEEES1K_S1M_S1L_lEENS_32ThreadwiseTensorSliceTransfer_v2IS3_S3_RKS3I_KS1O_NSU_IJLi8ELi1ELi1ELi32EEEENSU_IJLi1ELi2ELi0ELi3EEEELi3ELi32ELi0ELb1ELb0ELb0EEENS36_ILS37_1EKS3_lLb1ELS39_0EiEENS5_IJNS_12StaticBufferILS37_4ES3_Li256ELb1EEES3T_EEES3E_NS_25StaticBufferTupleOfVectorILS37_4EfLi64ELi4ELb1ELb0EEEEEvRKT1_RKT2_RT3_RKT4_RT5_RKT6_RKT7_RT8_RKT9_RT10_RKT11_RT12_i@rel32@hi+12
	v_mov_b32_e32 v0, 0x3b0
	v_mov_b32_e32 v1, s1
	v_mov_b32_e32 v2, 0xc80
	v_mov_b32_e32 v3, s1
	v_mov_b32_e32 v4, 48
	v_mov_b32_e32 v5, s1
	v_mov_b32_e32 v6, 0
	v_mov_b32_e32 v7, s1
	v_mov_b32_e32 v8, 0x368
	v_mov_b32_e32 v9, s1
	v_mov_b32_e32 v10, 0x388
	v_accvgpr_write_b32 a48, v11
	v_mov_b32_e32 v11, s1
	v_mov_b32_e32 v12, 0xcb0
	;; [unrolled: 1-line block ×12, first 2 shown]
	s_swappc_b64 s[30:31], s[2:3]
	s_waitcnt lgkmcnt(0)
	s_barrier
	scratch_load_dwordx4 v[6:9], off, off offset:2176
	v_accvgpr_read_b32 v2, a48
	v_lshrrev_b32_e32 v0, 2, v2
	v_lshlrev_b32_e32 v1, 2, v2
	v_lshrrev_b32_e32 v3, 3, v2
	v_accvgpr_read_b32 v11, a49
	v_and_b32_e32 v0, 12, v0
	v_and_b32_e32 v1, 28, v1
	v_lshrrev_b32_e32 v5, 1, v2
	v_lshlrev_b32_e32 v11, 1, v11
	s_add_i32 s0, s29, s27
	v_lshl_or_b32 v4, s25, 8, v3
	v_and_or_b32 v12, v3, 16, v0
	v_lshl_or_b32 v10, s24, 8, v1
	v_and_b32_e32 v5, 32, v5
	s_lshl_b32 s38, s0, 1
	v_lshlrev_b32_e32 v13, 1, v1
	v_mad_u64_u32 v[0:1], s[0:1], v4, s26, v[10:11]
	v_lshlrev_b32_e32 v12, 6, v12
	v_lshl_or_b32 v1, v3, 6, v13
	v_or3_b32 v3, v5, v12, v11
	v_cmp_gt_i32_e64 s[14:15], s28, v4
	v_cmp_gt_i32_e32 vcc, s29, v10
	v_bfrev_b32_e32 v2, 1
	s_and_b64 s[0:1], s[14:15], vcc
	s_mov_b32 s39, 0x20000
	v_or_b32_e32 v11, 32, v10
	s_lshl_b32 s18, s26, 5
	s_waitcnt vmcnt(0)
	v_cvt_f16_f32_e32 v5, v6
	v_cvt_f16_f32_e32 v6, v7
	;; [unrolled: 1-line block ×4, first 2 shown]
	ds_write_b16 v3, v5
	ds_write_b16 v3, v6 offset:64
	ds_write_b16 v3, v7 offset:128
	;; [unrolled: 1-line block ×3, first 2 shown]
	s_waitcnt lgkmcnt(0)
	s_barrier
	ds_read_b64 v[6:7], v1
	v_lshlrev_b32_e32 v5, 1, v0
	v_cndmask_b32_e64 v8, v2, 0, s[0:1]
	v_add_u32_e32 v8, v8, v5
	s_waitcnt lgkmcnt(0)
	buffer_atomic_pk_add_f16 v6, v8, s[36:39], 0 offen
	buffer_atomic_pk_add_f16 v7, v8, s[36:39], 4 offen
	s_waitcnt lgkmcnt(0)
	s_barrier
	scratch_load_dwordx4 v[6:9], off, off offset:2192
	v_cmp_gt_i32_e64 s[0:1], s29, v11
	s_and_b64 s[2:3], s[14:15], s[0:1]
	v_or_b32_e32 v11, 64, v10
	s_waitcnt vmcnt(0)
	v_cvt_f16_f32_e32 v6, v6
	v_cvt_f16_f32_e32 v7, v7
	v_cvt_f16_f32_e32 v8, v8
	v_cvt_f16_f32_e32 v9, v9
	ds_write_b16 v3, v6
	ds_write_b16 v3, v7 offset:64
	ds_write_b16 v3, v8 offset:128
	ds_write_b16 v3, v9 offset:192
	s_waitcnt lgkmcnt(0)
	s_barrier
	ds_read_b64 v[6:7], v1
	v_cndmask_b32_e64 v8, v2, 0, s[2:3]
	v_add_u32_e32 v8, v5, v8
	s_waitcnt lgkmcnt(0)
	buffer_atomic_pk_add_f16 v6, v8, s[36:39], 0 offen offset:64
	buffer_atomic_pk_add_f16 v7, v8, s[36:39], 4 offen offset:64
	s_waitcnt lgkmcnt(0)
	s_barrier
	scratch_load_dwordx4 v[6:9], off, off offset:2208
	v_cmp_gt_i32_e64 s[2:3], s29, v11
	s_and_b64 s[4:5], s[14:15], s[2:3]
	v_or_b32_e32 v11, 0x60, v10
	s_waitcnt vmcnt(0)
	v_cvt_f16_f32_e32 v6, v6
	v_cvt_f16_f32_e32 v7, v7
	v_cvt_f16_f32_e32 v8, v8
	v_cvt_f16_f32_e32 v9, v9
	ds_write_b16 v3, v6
	ds_write_b16 v3, v7 offset:64
	ds_write_b16 v3, v8 offset:128
	ds_write_b16 v3, v9 offset:192
	s_waitcnt lgkmcnt(0)
	s_barrier
	ds_read_b64 v[6:7], v1
	v_cndmask_b32_e64 v8, v2, 0, s[4:5]
	v_add_u32_e32 v8, v5, v8
	s_waitcnt lgkmcnt(0)
	buffer_atomic_pk_add_f16 v6, v8, s[36:39], 0 offen offset:128
	buffer_atomic_pk_add_f16 v7, v8, s[36:39], 4 offen offset:128
	;; [unrolled: 23-line block ×5, first 2 shown]
	s_waitcnt lgkmcnt(0)
	s_barrier
	scratch_load_dwordx4 v[6:9], off, off offset:2272
	v_cmp_gt_i32_e64 s[10:11], s29, v11
	s_and_b64 s[12:13], s[14:15], s[10:11]
	s_waitcnt vmcnt(0)
	v_cvt_f16_f32_e32 v6, v6
	v_cvt_f16_f32_e32 v7, v7
	v_cvt_f16_f32_e32 v8, v8
	v_cvt_f16_f32_e32 v9, v9
	ds_write_b16 v3, v6
	ds_write_b16 v3, v7 offset:64
	ds_write_b16 v3, v8 offset:128
	;; [unrolled: 1-line block ×3, first 2 shown]
	s_waitcnt lgkmcnt(0)
	s_barrier
	ds_read_b64 v[6:7], v1
	v_cndmask_b32_e64 v8, v2, 0, s[12:13]
	v_add_u32_e32 v5, v5, v8
	s_waitcnt lgkmcnt(0)
	buffer_atomic_pk_add_f16 v6, v5, s[36:39], 0 offen offset:384
	buffer_atomic_pk_add_f16 v7, v5, s[36:39], 4 offen offset:384
	s_waitcnt lgkmcnt(0)
	s_barrier
	scratch_load_dwordx4 v[6:9], off, off offset:2288
	v_or_b32_e32 v5, 0xe0, v10
	v_cmp_gt_i32_e64 s[12:13], s29, v5
	s_and_b64 s[14:15], s[14:15], s[12:13]
	v_add_u32_e32 v10, 0xe0, v0
	v_cndmask_b32_e64 v5, v2, 0, s[14:15]
	v_lshl_add_u32 v5, v10, 1, v5
	v_add_lshl_u32 v20, v10, s18, 1
	v_add_u32_e32 v0, s18, v0
	v_add_u32_e32 v32, s18, v0
	v_lshlrev_b32_e32 v30, 1, v32
	v_add_u32_e32 v33, 0xe0, v32
	v_add_u32_e32 v32, s18, v32
	s_waitcnt vmcnt(0)
	v_cvt_f16_f32_e32 v6, v6
	v_cvt_f16_f32_e32 v7, v7
	;; [unrolled: 1-line block ×4, first 2 shown]
	ds_write_b16 v3, v6
	ds_write_b16 v3, v7 offset:64
	ds_write_b16 v3, v8 offset:128
	;; [unrolled: 1-line block ×3, first 2 shown]
	s_waitcnt lgkmcnt(0)
	s_barrier
	ds_read_b64 v[6:7], v1
	s_waitcnt lgkmcnt(0)
	buffer_atomic_pk_add_f16 v6, v5, s[36:39], 0 offen
	buffer_atomic_pk_add_f16 v7, v5, s[36:39], 4 offen
	s_waitcnt lgkmcnt(0)
	s_barrier
	scratch_load_dwordx4 v[6:9], off, off offset:2416
	v_or_b32_e32 v5, 32, v4
	v_cmp_gt_i32_e64 s[14:15], s28, v5
	s_and_b64 s[16:17], s[14:15], s[12:13]
	s_waitcnt vmcnt(0)
	v_cvt_f16_f32_e32 v5, v6
	v_cvt_f16_f32_e32 v6, v7
	;; [unrolled: 1-line block ×4, first 2 shown]
	ds_write_b16 v3, v5
	ds_write_b16 v3, v6 offset:64
	ds_write_b16 v3, v7 offset:128
	;; [unrolled: 1-line block ×3, first 2 shown]
	s_waitcnt lgkmcnt(0)
	s_barrier
	ds_read_b64 v[6:7], v1
	v_cndmask_b32_e64 v5, v2, 0, s[16:17]
	v_add_u32_e32 v5, v20, v5
	s_waitcnt lgkmcnt(0)
	buffer_atomic_pk_add_f16 v6, v5, s[36:39], 0 offen
	buffer_atomic_pk_add_f16 v7, v5, s[36:39], 4 offen
	s_waitcnt lgkmcnt(0)
	s_barrier
	scratch_load_dwordx4 v[6:9], off, off offset:2400
	v_mov_b32_e32 v5, 0x7fffffc0
	s_and_b64 s[16:17], s[14:15], s[10:11]
	s_waitcnt vmcnt(0)
	v_cvt_f16_f32_e32 v6, v6
	v_cvt_f16_f32_e32 v7, v7
	;; [unrolled: 1-line block ×4, first 2 shown]
	ds_write_b16 v3, v6
	ds_write_b16 v3, v7 offset:64
	ds_write_b16 v3, v8 offset:128
	ds_write_b16 v3, v9 offset:192
	s_waitcnt lgkmcnt(0)
	s_barrier
	ds_read_b64 v[8:9], v1
	v_not_b32_e32 v7, 63
	v_cndmask_b32_e64 v6, v5, v7, s[16:17]
	v_add_u32_e32 v6, v20, v6
	s_waitcnt lgkmcnt(0)
	buffer_atomic_pk_add_f16 v8, v6, s[36:39], 0 offen
	buffer_atomic_pk_add_f16 v9, v6, s[36:39], 4 offen
	s_waitcnt lgkmcnt(0)
	s_barrier
	scratch_load_dwordx4 v[8:11], off, off offset:2384
	v_mov_b32_e32 v6, 0x7fffff80
	s_and_b64 s[16:17], s[14:15], s[8:9]
	s_waitcnt vmcnt(0)
	v_cvt_f16_f32_e32 v8, v8
	v_cvt_f16_f32_e32 v9, v9
	v_cvt_f16_f32_e32 v10, v10
	v_cvt_f16_f32_e32 v11, v11
	ds_write_b16 v3, v8
	ds_write_b16 v3, v9 offset:64
	ds_write_b16 v3, v10 offset:128
	ds_write_b16 v3, v11 offset:192
	s_waitcnt lgkmcnt(0)
	s_barrier
	ds_read_b64 v[10:11], v1
	v_mov_b32_e32 v9, 0xffffff80
	v_cndmask_b32_e64 v8, v6, v9, s[16:17]
	v_add_u32_e32 v8, v20, v8
	s_waitcnt lgkmcnt(0)
	buffer_atomic_pk_add_f16 v10, v8, s[36:39], 0 offen
	buffer_atomic_pk_add_f16 v11, v8, s[36:39], 4 offen
	s_waitcnt lgkmcnt(0)
	s_barrier
	scratch_load_dwordx4 v[10:13], off, off offset:2368
	v_mov_b32_e32 v8, 0x7fffff40
	s_and_b64 s[16:17], s[14:15], s[6:7]
	s_waitcnt vmcnt(0)
	v_cvt_f16_f32_e32 v10, v10
	v_cvt_f16_f32_e32 v11, v11
	v_cvt_f16_f32_e32 v12, v12
	v_cvt_f16_f32_e32 v13, v13
	ds_write_b16 v3, v10
	ds_write_b16 v3, v11 offset:64
	ds_write_b16 v3, v12 offset:128
	ds_write_b16 v3, v13 offset:192
	s_waitcnt lgkmcnt(0)
	s_barrier
	ds_read_b64 v[12:13], v1
	v_mov_b32_e32 v11, 0xffffff40
	;; [unrolled: 23-line block ×4, first 2 shown]
	v_cndmask_b32_e64 v14, v12, v15, s[16:17]
	v_add_u32_e32 v14, v20, v14
	s_waitcnt lgkmcnt(0)
	buffer_atomic_pk_add_f16 v16, v14, s[36:39], 0 offen
	buffer_atomic_pk_add_f16 v17, v14, s[36:39], 4 offen
	s_waitcnt lgkmcnt(0)
	s_barrier
	scratch_load_dwordx4 v[16:19], off, off offset:2320
	v_mov_b32_e32 v14, 0x7ffffe80
	s_and_b64 s[16:17], s[14:15], s[0:1]
	s_and_b64 s[14:15], vcc, s[14:15]
	s_waitcnt vmcnt(0)
	v_cvt_f16_f32_e32 v16, v16
	v_cvt_f16_f32_e32 v17, v17
	;; [unrolled: 1-line block ×4, first 2 shown]
	ds_write_b16 v3, v16
	ds_write_b16 v3, v17 offset:64
	ds_write_b16 v3, v18 offset:128
	;; [unrolled: 1-line block ×3, first 2 shown]
	s_waitcnt lgkmcnt(0)
	s_barrier
	ds_read_b64 v[18:19], v1
	v_mov_b32_e32 v16, 0xfffffe80
	v_cndmask_b32_e64 v17, v14, v16, s[16:17]
	v_add_u32_e32 v17, v20, v17
	s_waitcnt lgkmcnt(0)
	buffer_atomic_pk_add_f16 v18, v17, s[36:39], 0 offen
	buffer_atomic_pk_add_f16 v19, v17, s[36:39], 4 offen
	s_waitcnt lgkmcnt(0)
	s_barrier
	scratch_load_dwordx4 v[18:21], off, off offset:2304
	s_waitcnt vmcnt(0)
	v_cvt_f16_f32_e32 v17, v18
	v_cvt_f16_f32_e32 v18, v19
	;; [unrolled: 1-line block ×4, first 2 shown]
	ds_write_b16 v3, v17
	ds_write_b16 v3, v18 offset:64
	ds_write_b16 v3, v19 offset:128
	;; [unrolled: 1-line block ×3, first 2 shown]
	s_waitcnt lgkmcnt(0)
	s_barrier
	ds_read_b64 v[18:19], v1
	v_cndmask_b32_e64 v17, v2, 0, s[14:15]
	v_lshl_add_u32 v17, v0, 1, v17
	s_waitcnt lgkmcnt(0)
	buffer_atomic_pk_add_f16 v18, v17, s[36:39], 0 offen
	buffer_atomic_pk_add_f16 v19, v17, s[36:39], 4 offen
	s_waitcnt lgkmcnt(0)
	s_barrier
	scratch_load_dwordx4 v[18:21], off, off offset:2432
	v_or_b32_e32 v17, 64, v4
	v_cmp_gt_i32_e64 s[14:15], s28, v17
	s_and_b64 s[16:17], vcc, s[14:15]
	s_waitcnt vmcnt(0)
	v_cvt_f16_f32_e32 v17, v18
	v_cvt_f16_f32_e32 v18, v19
	;; [unrolled: 1-line block ×4, first 2 shown]
	ds_write_b16 v3, v17
	ds_write_b16 v3, v18 offset:64
	ds_write_b16 v3, v19 offset:128
	;; [unrolled: 1-line block ×3, first 2 shown]
	s_waitcnt lgkmcnt(0)
	s_barrier
	ds_read_b64 v[18:19], v1
	v_cndmask_b32_e64 v17, v2, 0, s[16:17]
	v_add_u32_e32 v0, v30, v17
	s_waitcnt lgkmcnt(0)
	buffer_atomic_pk_add_f16 v18, v0, s[36:39], 0 offen
	buffer_atomic_pk_add_f16 v19, v0, s[36:39], 4 offen
	s_waitcnt lgkmcnt(0)
	s_barrier
	scratch_load_dwordx4 v[18:21], off, off offset:2448
	s_and_b64 s[16:17], s[14:15], s[0:1]
	s_waitcnt vmcnt(0)
	v_cvt_f16_f32_e32 v0, v18
	v_cvt_f16_f32_e32 v17, v19
	v_cvt_f16_f32_e32 v18, v20
	v_cvt_f16_f32_e32 v19, v21
	ds_write_b16 v3, v0
	ds_write_b16 v3, v17 offset:64
	ds_write_b16 v3, v18 offset:128
	ds_write_b16 v3, v19 offset:192
	s_waitcnt lgkmcnt(0)
	s_barrier
	ds_read_b64 v[18:19], v1
	v_mov_b32_e32 v17, 0x80000040
	v_cndmask_b32_e64 v0, v17, 64, s[16:17]
	v_add_u32_e32 v0, v30, v0
	s_waitcnt lgkmcnt(0)
	buffer_atomic_pk_add_f16 v18, v0, s[36:39], 0 offen
	buffer_atomic_pk_add_f16 v19, v0, s[36:39], 4 offen
	s_waitcnt lgkmcnt(0)
	s_barrier
	scratch_load_dwordx4 v[18:21], off, off offset:2464
	v_mov_b32_e32 v0, 0x80000080
	s_and_b64 s[16:17], s[14:15], s[2:3]
	s_waitcnt vmcnt(0)
	v_cvt_f16_f32_e32 v18, v18
	v_cvt_f16_f32_e32 v19, v19
	v_cvt_f16_f32_e32 v20, v20
	v_cvt_f16_f32_e32 v21, v21
	ds_write_b16 v3, v18
	ds_write_b16 v3, v19 offset:64
	ds_write_b16 v3, v20 offset:128
	ds_write_b16 v3, v21 offset:192
	s_waitcnt lgkmcnt(0)
	s_barrier
	ds_read_b64 v[20:21], v1
	v_mov_b32_e32 v19, 0x80
	v_cndmask_b32_e64 v18, v0, v19, s[16:17]
	v_add_u32_e32 v18, v30, v18
	s_waitcnt lgkmcnt(0)
	buffer_atomic_pk_add_f16 v20, v18, s[36:39], 0 offen
	buffer_atomic_pk_add_f16 v21, v18, s[36:39], 4 offen
	s_waitcnt lgkmcnt(0)
	s_barrier
	scratch_load_dwordx4 v[20:23], off, off offset:2480
	v_mov_b32_e32 v18, 0x800000c0
	;; [unrolled: 23-line block ×5, first 2 shown]
	s_and_b64 s[16:17], s[14:15], s[10:11]
	s_and_b64 s[14:15], s[14:15], s[12:13]
	s_waitcnt vmcnt(0)
	v_cvt_f16_f32_e32 v26, v26
	v_cvt_f16_f32_e32 v27, v27
	;; [unrolled: 1-line block ×4, first 2 shown]
	ds_write_b16 v3, v26
	ds_write_b16 v3, v27 offset:64
	ds_write_b16 v3, v28 offset:128
	ds_write_b16 v3, v29 offset:192
	s_waitcnt lgkmcnt(0)
	s_barrier
	ds_read_b64 v[28:29], v1
	v_mov_b32_e32 v26, 0x180
	v_cndmask_b32_e64 v27, v24, v26, s[16:17]
	v_add_u32_e32 v27, v30, v27
	s_waitcnt lgkmcnt(0)
	buffer_atomic_pk_add_f16 v28, v27, s[36:39], 0 offen
	buffer_atomic_pk_add_f16 v29, v27, s[36:39], 4 offen
	s_waitcnt lgkmcnt(0)
	s_barrier
	scratch_load_dwordx4 v[28:31], off, off offset:2544
	s_waitcnt vmcnt(0)
	v_cvt_f16_f32_e32 v27, v28
	v_cvt_f16_f32_e32 v28, v29
	;; [unrolled: 1-line block ×4, first 2 shown]
	ds_write_b16 v3, v27
	ds_write_b16 v3, v28 offset:64
	ds_write_b16 v3, v29 offset:128
	;; [unrolled: 1-line block ×3, first 2 shown]
	s_waitcnt lgkmcnt(0)
	s_barrier
	ds_read_b64 v[28:29], v1
	v_cndmask_b32_e64 v27, v2, 0, s[14:15]
	v_lshl_add_u32 v27, v33, 1, v27
	s_waitcnt lgkmcnt(0)
	buffer_atomic_pk_add_f16 v28, v27, s[36:39], 0 offen
	buffer_atomic_pk_add_f16 v29, v27, s[36:39], 4 offen
	s_waitcnt lgkmcnt(0)
	s_barrier
	scratch_load_dwordx4 v[28:31], off, off offset:2672
	v_or_b32_e32 v27, 0x60, v4
	v_cmp_gt_i32_e64 s[14:15], s28, v27
	s_and_b64 s[16:17], s[14:15], s[12:13]
	v_add_lshl_u32 v33, v33, s18, 1
	s_waitcnt vmcnt(0)
	v_cvt_f16_f32_e32 v27, v28
	v_cvt_f16_f32_e32 v28, v29
	v_cvt_f16_f32_e32 v29, v30
	v_cvt_f16_f32_e32 v30, v31
	ds_write_b16 v3, v27
	ds_write_b16 v3, v28 offset:64
	ds_write_b16 v3, v29 offset:128
	ds_write_b16 v3, v30 offset:192
	s_waitcnt lgkmcnt(0)
	s_barrier
	ds_read_b64 v[28:29], v1
	v_cndmask_b32_e64 v27, v2, 0, s[16:17]
	v_add_u32_e32 v27, v33, v27
	s_waitcnt lgkmcnt(0)
	buffer_atomic_pk_add_f16 v28, v27, s[36:39], 0 offen
	buffer_atomic_pk_add_f16 v29, v27, s[36:39], 4 offen
	s_waitcnt lgkmcnt(0)
	s_barrier
	scratch_load_dwordx4 v[28:31], off, off offset:2656
	s_and_b64 s[16:17], s[14:15], s[10:11]
	s_waitcnt vmcnt(0)
	v_cvt_f16_f32_e32 v27, v28
	v_cvt_f16_f32_e32 v28, v29
	v_cvt_f16_f32_e32 v29, v30
	v_cvt_f16_f32_e32 v30, v31
	ds_write_b16 v3, v27
	ds_write_b16 v3, v28 offset:64
	ds_write_b16 v3, v29 offset:128
	ds_write_b16 v3, v30 offset:192
	s_waitcnt lgkmcnt(0)
	s_barrier
	ds_read_b64 v[28:29], v1
	v_cndmask_b32_e64 v27, v5, v7, s[16:17]
	v_add_u32_e32 v27, v33, v27
	s_waitcnt lgkmcnt(0)
	buffer_atomic_pk_add_f16 v28, v27, s[36:39], 0 offen
	buffer_atomic_pk_add_f16 v29, v27, s[36:39], 4 offen
	s_waitcnt lgkmcnt(0)
	s_barrier
	scratch_load_dwordx4 v[28:31], off, off offset:2640
	s_and_b64 s[16:17], s[14:15], s[8:9]
	;; [unrolled: 21-line block ×6, first 2 shown]
	s_and_b64 s[14:15], vcc, s[14:15]
	s_waitcnt vmcnt(0)
	v_cvt_f16_f32_e32 v27, v28
	v_cvt_f16_f32_e32 v28, v29
	v_cvt_f16_f32_e32 v29, v30
	v_cvt_f16_f32_e32 v30, v31
	ds_write_b16 v3, v27
	ds_write_b16 v3, v28 offset:64
	ds_write_b16 v3, v29 offset:128
	;; [unrolled: 1-line block ×3, first 2 shown]
	s_waitcnt lgkmcnt(0)
	s_barrier
	ds_read_b64 v[28:29], v1
	v_cndmask_b32_e64 v27, v14, v16, s[16:17]
	v_add_u32_e32 v27, v33, v27
	s_waitcnt lgkmcnt(0)
	buffer_atomic_pk_add_f16 v28, v27, s[36:39], 0 offen
	buffer_atomic_pk_add_f16 v29, v27, s[36:39], 4 offen
	s_waitcnt lgkmcnt(0)
	s_barrier
	scratch_load_dwordx4 v[28:31], off, off offset:2560
	s_waitcnt vmcnt(0)
	v_cvt_f16_f32_e32 v27, v28
	v_cvt_f16_f32_e32 v28, v29
	;; [unrolled: 1-line block ×4, first 2 shown]
	ds_write_b16 v3, v27
	ds_write_b16 v3, v28 offset:64
	ds_write_b16 v3, v29 offset:128
	ds_write_b16 v3, v30 offset:192
	s_waitcnt lgkmcnt(0)
	s_barrier
	ds_read_b64 v[28:29], v1
	v_cndmask_b32_e64 v27, v2, 0, s[14:15]
	v_lshl_add_u32 v27, v32, 1, v27
	s_waitcnt lgkmcnt(0)
	buffer_atomic_pk_add_f16 v28, v27, s[36:39], 0 offen
	buffer_atomic_pk_add_f16 v29, v27, s[36:39], 4 offen
	s_waitcnt lgkmcnt(0)
	s_barrier
	scratch_load_dwordx4 v[28:31], off, off offset:2688
	v_or_b32_e32 v27, 0x80, v4
	v_cmp_gt_i32_e64 s[14:15], s28, v27
	s_and_b64 s[16:17], vcc, s[14:15]
	v_add_u32_e32 v32, s18, v32
	v_lshlrev_b32_e32 v33, 1, v32
	s_waitcnt vmcnt(0)
	v_cvt_f16_f32_e32 v27, v28
	v_cvt_f16_f32_e32 v28, v29
	v_cvt_f16_f32_e32 v29, v30
	v_cvt_f16_f32_e32 v30, v31
	ds_write_b16 v3, v27
	ds_write_b16 v3, v28 offset:64
	ds_write_b16 v3, v29 offset:128
	ds_write_b16 v3, v30 offset:192
	s_waitcnt lgkmcnt(0)
	s_barrier
	ds_read_b64 v[28:29], v1
	v_cndmask_b32_e64 v27, v2, 0, s[16:17]
	v_add_u32_e32 v27, v33, v27
	s_waitcnt lgkmcnt(0)
	buffer_atomic_pk_add_f16 v28, v27, s[36:39], 0 offen
	buffer_atomic_pk_add_f16 v29, v27, s[36:39], 4 offen
	s_waitcnt lgkmcnt(0)
	s_barrier
	scratch_load_dwordx4 v[28:31], off, off offset:2704
	s_and_b64 s[16:17], s[14:15], s[0:1]
	s_waitcnt vmcnt(0)
	v_cvt_f16_f32_e32 v27, v28
	v_cvt_f16_f32_e32 v28, v29
	v_cvt_f16_f32_e32 v29, v30
	v_cvt_f16_f32_e32 v30, v31
	ds_write_b16 v3, v27
	ds_write_b16 v3, v28 offset:64
	ds_write_b16 v3, v29 offset:128
	ds_write_b16 v3, v30 offset:192
	s_waitcnt lgkmcnt(0)
	s_barrier
	ds_read_b64 v[28:29], v1
	v_cndmask_b32_e64 v27, v17, 64, s[16:17]
	v_add_u32_e32 v27, v33, v27
	s_waitcnt lgkmcnt(0)
	buffer_atomic_pk_add_f16 v28, v27, s[36:39], 0 offen
	buffer_atomic_pk_add_f16 v29, v27, s[36:39], 4 offen
	s_waitcnt lgkmcnt(0)
	s_barrier
	scratch_load_dwordx4 v[28:31], off, off offset:2720
	s_and_b64 s[16:17], s[14:15], s[2:3]
	;; [unrolled: 21-line block ×6, first 2 shown]
	s_and_b64 s[14:15], s[14:15], s[12:13]
	s_waitcnt vmcnt(0)
	v_cvt_f16_f32_e32 v27, v28
	v_cvt_f16_f32_e32 v28, v29
	;; [unrolled: 1-line block ×4, first 2 shown]
	ds_write_b16 v3, v27
	ds_write_b16 v3, v28 offset:64
	ds_write_b16 v3, v29 offset:128
	;; [unrolled: 1-line block ×3, first 2 shown]
	s_waitcnt lgkmcnt(0)
	s_barrier
	ds_read_b64 v[28:29], v1
	v_cndmask_b32_e64 v27, v24, v26, s[16:17]
	v_add_u32_e32 v27, v33, v27
	s_waitcnt lgkmcnt(0)
	buffer_atomic_pk_add_f16 v28, v27, s[36:39], 0 offen
	buffer_atomic_pk_add_f16 v29, v27, s[36:39], 4 offen
	s_waitcnt lgkmcnt(0)
	s_barrier
	scratch_load_dwordx4 v[28:31], off, off offset:2800
	v_add_u32_e32 v33, 0xe0, v32
	v_add_u32_e32 v32, s18, v32
	s_waitcnt vmcnt(0)
	v_cvt_f16_f32_e32 v27, v28
	v_cvt_f16_f32_e32 v28, v29
	;; [unrolled: 1-line block ×4, first 2 shown]
	ds_write_b16 v3, v27
	ds_write_b16 v3, v28 offset:64
	ds_write_b16 v3, v29 offset:128
	;; [unrolled: 1-line block ×3, first 2 shown]
	s_waitcnt lgkmcnt(0)
	s_barrier
	ds_read_b64 v[28:29], v1
	v_cndmask_b32_e64 v27, v2, 0, s[14:15]
	v_lshl_add_u32 v27, v33, 1, v27
	s_waitcnt lgkmcnt(0)
	buffer_atomic_pk_add_f16 v28, v27, s[36:39], 0 offen
	buffer_atomic_pk_add_f16 v29, v27, s[36:39], 4 offen
	s_waitcnt lgkmcnt(0)
	s_barrier
	scratch_load_dwordx4 v[28:31], off, off offset:2928
	v_or_b32_e32 v27, 0xa0, v4
	v_cmp_gt_i32_e64 s[14:15], s28, v27
	s_and_b64 s[16:17], s[14:15], s[12:13]
	v_add_lshl_u32 v33, v33, s18, 1
	s_waitcnt vmcnt(0)
	v_cvt_f16_f32_e32 v27, v28
	v_cvt_f16_f32_e32 v28, v29
	v_cvt_f16_f32_e32 v29, v30
	v_cvt_f16_f32_e32 v30, v31
	ds_write_b16 v3, v27
	ds_write_b16 v3, v28 offset:64
	ds_write_b16 v3, v29 offset:128
	ds_write_b16 v3, v30 offset:192
	s_waitcnt lgkmcnt(0)
	s_barrier
	ds_read_b64 v[28:29], v1
	v_cndmask_b32_e64 v27, v2, 0, s[16:17]
	v_add_u32_e32 v27, v33, v27
	s_waitcnt lgkmcnt(0)
	buffer_atomic_pk_add_f16 v28, v27, s[36:39], 0 offen
	buffer_atomic_pk_add_f16 v29, v27, s[36:39], 4 offen
	s_waitcnt lgkmcnt(0)
	s_barrier
	scratch_load_dwordx4 v[28:31], off, off offset:2912
	s_and_b64 s[16:17], s[14:15], s[10:11]
	s_waitcnt vmcnt(0)
	v_cvt_f16_f32_e32 v27, v28
	v_cvt_f16_f32_e32 v28, v29
	v_cvt_f16_f32_e32 v29, v30
	v_cvt_f16_f32_e32 v30, v31
	ds_write_b16 v3, v27
	ds_write_b16 v3, v28 offset:64
	ds_write_b16 v3, v29 offset:128
	ds_write_b16 v3, v30 offset:192
	s_waitcnt lgkmcnt(0)
	s_barrier
	ds_read_b64 v[28:29], v1
	v_cndmask_b32_e64 v27, v5, v7, s[16:17]
	v_add_u32_e32 v27, v33, v27
	s_waitcnt lgkmcnt(0)
	buffer_atomic_pk_add_f16 v28, v27, s[36:39], 0 offen
	buffer_atomic_pk_add_f16 v29, v27, s[36:39], 4 offen
	s_waitcnt lgkmcnt(0)
	s_barrier
	scratch_load_dwordx4 v[28:31], off, off offset:2896
	s_and_b64 s[16:17], s[14:15], s[8:9]
	;; [unrolled: 21-line block ×6, first 2 shown]
	s_and_b64 s[14:15], vcc, s[14:15]
	s_waitcnt vmcnt(0)
	v_cvt_f16_f32_e32 v27, v28
	v_cvt_f16_f32_e32 v28, v29
	;; [unrolled: 1-line block ×4, first 2 shown]
	ds_write_b16 v3, v27
	ds_write_b16 v3, v28 offset:64
	ds_write_b16 v3, v29 offset:128
	ds_write_b16 v3, v30 offset:192
	s_waitcnt lgkmcnt(0)
	s_barrier
	ds_read_b64 v[28:29], v1
	v_cndmask_b32_e64 v27, v14, v16, s[16:17]
	v_add_u32_e32 v27, v33, v27
	s_waitcnt lgkmcnt(0)
	buffer_atomic_pk_add_f16 v28, v27, s[36:39], 0 offen
	buffer_atomic_pk_add_f16 v29, v27, s[36:39], 4 offen
	s_waitcnt lgkmcnt(0)
	s_barrier
	scratch_load_dwordx4 v[28:31], off, off offset:2816
	s_waitcnt vmcnt(0)
	v_cvt_f16_f32_e32 v27, v28
	v_cvt_f16_f32_e32 v28, v29
	;; [unrolled: 1-line block ×4, first 2 shown]
	ds_write_b16 v3, v27
	ds_write_b16 v3, v28 offset:64
	ds_write_b16 v3, v29 offset:128
	;; [unrolled: 1-line block ×3, first 2 shown]
	s_waitcnt lgkmcnt(0)
	s_barrier
	ds_read_b64 v[28:29], v1
	v_cndmask_b32_e64 v27, v2, 0, s[14:15]
	v_lshl_add_u32 v27, v32, 1, v27
	s_waitcnt lgkmcnt(0)
	buffer_atomic_pk_add_f16 v28, v27, s[36:39], 0 offen
	buffer_atomic_pk_add_f16 v29, v27, s[36:39], 4 offen
	s_waitcnt lgkmcnt(0)
	s_barrier
	scratch_load_dwordx4 v[28:31], off, off offset:2944
	v_or_b32_e32 v27, 0xc0, v4
	v_cmp_gt_i32_e64 s[14:15], s28, v27
	s_and_b64 s[16:17], vcc, s[14:15]
	v_add_u32_e32 v32, s18, v32
	v_lshlrev_b32_e32 v33, 1, v32
	s_waitcnt vmcnt(0)
	v_cvt_f16_f32_e32 v27, v28
	v_cvt_f16_f32_e32 v28, v29
	;; [unrolled: 1-line block ×4, first 2 shown]
	ds_write_b16 v3, v27
	ds_write_b16 v3, v28 offset:64
	ds_write_b16 v3, v29 offset:128
	;; [unrolled: 1-line block ×3, first 2 shown]
	s_waitcnt lgkmcnt(0)
	s_barrier
	ds_read_b64 v[28:29], v1
	v_cndmask_b32_e64 v27, v2, 0, s[16:17]
	v_add_u32_e32 v27, v33, v27
	s_waitcnt lgkmcnt(0)
	buffer_atomic_pk_add_f16 v28, v27, s[36:39], 0 offen
	buffer_atomic_pk_add_f16 v29, v27, s[36:39], 4 offen
	s_waitcnt lgkmcnt(0)
	s_barrier
	scratch_load_dwordx4 v[28:31], off, off offset:2960
	s_and_b64 s[16:17], s[14:15], s[0:1]
	v_cndmask_b32_e64 v17, v17, 64, s[16:17]
	v_add_u32_e32 v17, v33, v17
	s_and_b64 s[16:17], s[14:15], s[2:3]
	v_cndmask_b32_e64 v0, v0, v19, s[16:17]
	v_add_u32_e32 v0, v33, v0
	s_and_b64 s[16:17], s[14:15], s[4:5]
	s_waitcnt vmcnt(0)
	v_cvt_f16_f32_e32 v27, v28
	v_cvt_f16_f32_e32 v28, v29
	;; [unrolled: 1-line block ×4, first 2 shown]
	ds_write_b16 v3, v27
	ds_write_b16 v3, v28 offset:64
	ds_write_b16 v3, v29 offset:128
	;; [unrolled: 1-line block ×3, first 2 shown]
	s_waitcnt lgkmcnt(0)
	s_barrier
	ds_read_b64 v[28:29], v1
	s_waitcnt lgkmcnt(0)
	buffer_atomic_pk_add_f16 v28, v17, s[36:39], 0 offen
	buffer_atomic_pk_add_f16 v29, v17, s[36:39], 4 offen
	s_waitcnt lgkmcnt(0)
	s_barrier
	scratch_load_dwordx4 v[28:31], off, off offset:2976
	s_waitcnt vmcnt(0)
	v_cvt_f16_f32_e32 v17, v28
	v_cvt_f16_f32_e32 v27, v29
	;; [unrolled: 1-line block ×4, first 2 shown]
	ds_write_b16 v3, v17
	ds_write_b16 v3, v27 offset:64
	ds_write_b16 v3, v28 offset:128
	;; [unrolled: 1-line block ×3, first 2 shown]
	s_waitcnt lgkmcnt(0)
	s_barrier
	ds_read_b64 v[28:29], v1
	s_waitcnt lgkmcnt(0)
	buffer_atomic_pk_add_f16 v28, v0, s[36:39], 0 offen
	buffer_atomic_pk_add_f16 v29, v0, s[36:39], 4 offen
	s_waitcnt lgkmcnt(0)
	s_barrier
	scratch_load_dwordx4 v[28:31], off, off offset:2992
	s_waitcnt vmcnt(0)
	v_cvt_f16_f32_e32 v0, v28
	v_cvt_f16_f32_e32 v17, v29
	v_cvt_f16_f32_e32 v19, v30
	v_cvt_f16_f32_e32 v27, v31
	ds_write_b16 v3, v0
	ds_write_b16 v3, v17 offset:64
	ds_write_b16 v3, v19 offset:128
	ds_write_b16 v3, v27 offset:192
	s_waitcnt lgkmcnt(0)
	s_barrier
	ds_read_b64 v[28:29], v1
	v_cndmask_b32_e64 v0, v18, v21, s[16:17]
	v_add_u32_e32 v0, v33, v0
	s_waitcnt lgkmcnt(0)
	buffer_atomic_pk_add_f16 v28, v0, s[36:39], 0 offen
	buffer_atomic_pk_add_f16 v29, v0, s[36:39], 4 offen
	s_waitcnt lgkmcnt(0)
	s_barrier
	scratch_load_dwordx4 v[28:31], off, off offset:3008
	s_and_b64 s[16:17], s[14:15], s[6:7]
	s_waitcnt vmcnt(0)
	v_cvt_f16_f32_e32 v0, v28
	v_cvt_f16_f32_e32 v17, v29
	v_cvt_f16_f32_e32 v18, v30
	v_cvt_f16_f32_e32 v19, v31
	ds_write_b16 v3, v0
	ds_write_b16 v3, v17 offset:64
	ds_write_b16 v3, v18 offset:128
	ds_write_b16 v3, v19 offset:192
	s_waitcnt lgkmcnt(0)
	s_barrier
	ds_read_b64 v[18:19], v1
	v_cndmask_b32_e64 v0, v20, v23, s[16:17]
	v_add_u32_e32 v0, v33, v0
	s_waitcnt lgkmcnt(0)
	buffer_atomic_pk_add_f16 v18, v0, s[36:39], 0 offen
	buffer_atomic_pk_add_f16 v19, v0, s[36:39], 4 offen
	s_waitcnt lgkmcnt(0)
	s_barrier
	scratch_load_dwordx4 v[18:21], off, off offset:3024
	s_and_b64 s[16:17], s[14:15], s[8:9]
	;; [unrolled: 21-line block ×3, first 2 shown]
	s_and_b64 s[14:15], s[14:15], s[12:13]
	s_waitcnt vmcnt(0)
	v_cvt_f16_f32_e32 v0, v18
	v_cvt_f16_f32_e32 v17, v19
	;; [unrolled: 1-line block ×4, first 2 shown]
	ds_write_b16 v3, v0
	ds_write_b16 v3, v17 offset:64
	ds_write_b16 v3, v18 offset:128
	;; [unrolled: 1-line block ×3, first 2 shown]
	s_waitcnt lgkmcnt(0)
	s_barrier
	ds_read_b64 v[18:19], v1
	v_cndmask_b32_e64 v0, v24, v26, s[16:17]
	v_add_u32_e32 v0, v33, v0
	s_waitcnt lgkmcnt(0)
	buffer_atomic_pk_add_f16 v18, v0, s[36:39], 0 offen
	buffer_atomic_pk_add_f16 v19, v0, s[36:39], 4 offen
	s_waitcnt lgkmcnt(0)
	s_barrier
	scratch_load_dwordx4 v[18:21], off, off offset:3056
	s_waitcnt vmcnt(0)
	v_cvt_f16_f32_e32 v0, v18
	v_cvt_f16_f32_e32 v17, v19
	;; [unrolled: 1-line block ×4, first 2 shown]
	ds_write_b16 v3, v0
	ds_write_b16 v3, v17 offset:64
	ds_write_b16 v3, v18 offset:128
	;; [unrolled: 1-line block ×3, first 2 shown]
	s_waitcnt lgkmcnt(0)
	s_barrier
	ds_read_b64 v[18:19], v1
	v_cndmask_b32_e64 v0, v2, 0, s[14:15]
	v_add_u32_e32 v17, 0xe0, v32
	v_lshl_add_u32 v0, v17, 1, v0
	s_waitcnt lgkmcnt(0)
	buffer_atomic_pk_add_f16 v18, v0, s[36:39], 0 offen
	buffer_atomic_pk_add_f16 v19, v0, s[36:39], 4 offen
	s_waitcnt lgkmcnt(0)
	s_barrier
	scratch_load_dwordx4 v[18:21], off, off offset:3184
	v_or_b32_e32 v0, 0xe0, v4
	v_cmp_gt_i32_e64 s[14:15], s28, v0
	s_and_b64 s[12:13], s[14:15], s[12:13]
	v_add_lshl_u32 v17, v17, s18, 1
	s_and_b64 s[10:11], s[14:15], s[10:11]
	s_and_b64 s[8:9], s[14:15], s[8:9]
	;; [unrolled: 1-line block ×6, first 2 shown]
	s_waitcnt vmcnt(0)
	v_cvt_f16_f32_e32 v0, v18
	v_cvt_f16_f32_e32 v4, v19
	v_cvt_f16_f32_e32 v18, v20
	v_cvt_f16_f32_e32 v19, v21
	ds_write_b16 v3, v0
	ds_write_b16 v3, v4 offset:64
	ds_write_b16 v3, v18 offset:128
	ds_write_b16 v3, v19 offset:192
	s_waitcnt lgkmcnt(0)
	s_barrier
	ds_read_b64 v[18:19], v1
	v_cndmask_b32_e64 v0, v2, 0, s[12:13]
	v_add_u32_e32 v0, v17, v0
	s_waitcnt lgkmcnt(0)
	buffer_atomic_pk_add_f16 v18, v0, s[36:39], 0 offen
	buffer_atomic_pk_add_f16 v19, v0, s[36:39], 4 offen
	s_waitcnt lgkmcnt(0)
	s_barrier
	scratch_load_dwordx4 v[18:21], off, off offset:3168
	s_waitcnt vmcnt(0)
	v_cvt_f16_f32_e32 v0, v18
	v_cvt_f16_f32_e32 v4, v19
	v_cvt_f16_f32_e32 v18, v20
	v_cvt_f16_f32_e32 v19, v21
	ds_write_b16 v3, v0
	ds_write_b16 v3, v4 offset:64
	ds_write_b16 v3, v18 offset:128
	ds_write_b16 v3, v19 offset:192
	s_waitcnt lgkmcnt(0)
	s_barrier
	ds_read_b64 v[18:19], v1
	v_cndmask_b32_e64 v0, v5, v7, s[10:11]
	v_add_u32_e32 v0, v17, v0
	s_waitcnt lgkmcnt(0)
	buffer_atomic_pk_add_f16 v18, v0, s[36:39], 0 offen
	buffer_atomic_pk_add_f16 v19, v0, s[36:39], 4 offen
	s_waitcnt lgkmcnt(0)
	s_barrier
	scratch_load_dwordx4 v[18:21], off, off offset:3152
	;; [unrolled: 20-line block ×7, first 2 shown]
	s_and_b64 s[0:1], vcc, s[14:15]
	v_cndmask_b32_e64 v2, v2, 0, s[0:1]
	s_waitcnt vmcnt(0)
	v_cvt_f16_f32_e32 v0, v4
	v_cvt_f16_f32_e32 v4, v5
	;; [unrolled: 1-line block ×4, first 2 shown]
	ds_write_b16 v3, v0
	ds_write_b16 v3, v4 offset:64
	ds_write_b16 v3, v5 offset:128
	;; [unrolled: 1-line block ×3, first 2 shown]
	s_waitcnt lgkmcnt(0)
	s_barrier
	ds_read_b64 v[0:1], v1
	v_add_u32_e32 v3, s18, v32
	v_lshl_add_u32 v2, v3, 1, v2
	s_waitcnt lgkmcnt(0)
	buffer_atomic_pk_add_f16 v0, v2, s[36:39], 0 offen
	buffer_atomic_pk_add_f16 v1, v2, s[36:39], 4 offen
	s_endpgm
	.section	.rodata,"a",@progbits
	.p2align	6, 0x0
	.amdhsa_kernel _ZN2ck45kernel_gemm_xdl_cshuffle_v3_b_preshuffle_2ldsINS_41GridwiseGemm_xdl_cshuffle_v3_b_preshuffleINS_13tensor_layout4gemm8RowMajorENS3_11ColumnMajorES4_NS_9f8_fnuz_tENS_7pk_i4_tEfDF16_DF16_NS_16tensor_operation12element_wise11PassThroughESA_SA_LNS8_6device18GemmSpecializationE0ELi256ELi256ELi256ELi128ELi16ELi32ELi16ELi16ELi8ELi8ENS_8SequenceIJLi8ELi32ELi1EEEENSD_IJLi1ELi0ELi2EEEESF_Li2ELi16ELi16ELb0ELi0ENSD_IJLi4ELi64ELi1EEEESF_SF_Li2ELi32ELi32ELb0ELi0ELi1ELi1ENSD_IJLi1ELi32ELi1ELi8EEEELi4ELNS_26BlockGemmPipelineSchedulerE0ELNS_24BlockGemmPipelineVersionE2ES6_S6_Lb0ELb0ELi0EEELb1ELNS_25InMemoryDataOperationEnumE1ELi1ELNS_10TailNumberE0EEEvNT_8ArgumentE
		.amdhsa_group_segment_fixed_size 65536
		.amdhsa_private_segment_fixed_size 3312
		.amdhsa_kernarg_size 112
		.amdhsa_user_sgpr_count 2
		.amdhsa_user_sgpr_dispatch_ptr 0
		.amdhsa_user_sgpr_queue_ptr 0
		.amdhsa_user_sgpr_kernarg_segment_ptr 1
		.amdhsa_user_sgpr_dispatch_id 0
		.amdhsa_user_sgpr_kernarg_preload_length 0
		.amdhsa_user_sgpr_kernarg_preload_offset 0
		.amdhsa_user_sgpr_private_segment_size 0
		.amdhsa_uses_dynamic_stack 0
		.amdhsa_enable_private_segment 1
		.amdhsa_system_sgpr_workgroup_id_x 1
		.amdhsa_system_sgpr_workgroup_id_y 0
		.amdhsa_system_sgpr_workgroup_id_z 1
		.amdhsa_system_sgpr_workgroup_info 0
		.amdhsa_system_vgpr_workitem_id 0
		.amdhsa_next_free_vgpr 306
		.amdhsa_next_free_sgpr 96
		.amdhsa_accum_offset 256
		.amdhsa_reserve_vcc 1
		.amdhsa_float_round_mode_32 0
		.amdhsa_float_round_mode_16_64 0
		.amdhsa_float_denorm_mode_32 3
		.amdhsa_float_denorm_mode_16_64 3
		.amdhsa_dx10_clamp 1
		.amdhsa_ieee_mode 1
		.amdhsa_fp16_overflow 0
		.amdhsa_tg_split 0
		.amdhsa_exception_fp_ieee_invalid_op 0
		.amdhsa_exception_fp_denorm_src 0
		.amdhsa_exception_fp_ieee_div_zero 0
		.amdhsa_exception_fp_ieee_overflow 0
		.amdhsa_exception_fp_ieee_underflow 0
		.amdhsa_exception_fp_ieee_inexact 0
		.amdhsa_exception_int_div_zero 0
	.end_amdhsa_kernel
	.section	.text._ZN2ck45kernel_gemm_xdl_cshuffle_v3_b_preshuffle_2ldsINS_41GridwiseGemm_xdl_cshuffle_v3_b_preshuffleINS_13tensor_layout4gemm8RowMajorENS3_11ColumnMajorES4_NS_9f8_fnuz_tENS_7pk_i4_tEfDF16_DF16_NS_16tensor_operation12element_wise11PassThroughESA_SA_LNS8_6device18GemmSpecializationE0ELi256ELi256ELi256ELi128ELi16ELi32ELi16ELi16ELi8ELi8ENS_8SequenceIJLi8ELi32ELi1EEEENSD_IJLi1ELi0ELi2EEEESF_Li2ELi16ELi16ELb0ELi0ENSD_IJLi4ELi64ELi1EEEESF_SF_Li2ELi32ELi32ELb0ELi0ELi1ELi1ENSD_IJLi1ELi32ELi1ELi8EEEELi4ELNS_26BlockGemmPipelineSchedulerE0ELNS_24BlockGemmPipelineVersionE2ES6_S6_Lb0ELb0ELi0EEELb1ELNS_25InMemoryDataOperationEnumE1ELi1ELNS_10TailNumberE0EEEvNT_8ArgumentE,"axG",@progbits,_ZN2ck45kernel_gemm_xdl_cshuffle_v3_b_preshuffle_2ldsINS_41GridwiseGemm_xdl_cshuffle_v3_b_preshuffleINS_13tensor_layout4gemm8RowMajorENS3_11ColumnMajorES4_NS_9f8_fnuz_tENS_7pk_i4_tEfDF16_DF16_NS_16tensor_operation12element_wise11PassThroughESA_SA_LNS8_6device18GemmSpecializationE0ELi256ELi256ELi256ELi128ELi16ELi32ELi16ELi16ELi8ELi8ENS_8SequenceIJLi8ELi32ELi1EEEENSD_IJLi1ELi0ELi2EEEESF_Li2ELi16ELi16ELb0ELi0ENSD_IJLi4ELi64ELi1EEEESF_SF_Li2ELi32ELi32ELb0ELi0ELi1ELi1ENSD_IJLi1ELi32ELi1ELi8EEEELi4ELNS_26BlockGemmPipelineSchedulerE0ELNS_24BlockGemmPipelineVersionE2ES6_S6_Lb0ELb0ELi0EEELb1ELNS_25InMemoryDataOperationEnumE1ELi1ELNS_10TailNumberE0EEEvNT_8ArgumentE,comdat
.Lfunc_end2:
	.size	_ZN2ck45kernel_gemm_xdl_cshuffle_v3_b_preshuffle_2ldsINS_41GridwiseGemm_xdl_cshuffle_v3_b_preshuffleINS_13tensor_layout4gemm8RowMajorENS3_11ColumnMajorES4_NS_9f8_fnuz_tENS_7pk_i4_tEfDF16_DF16_NS_16tensor_operation12element_wise11PassThroughESA_SA_LNS8_6device18GemmSpecializationE0ELi256ELi256ELi256ELi128ELi16ELi32ELi16ELi16ELi8ELi8ENS_8SequenceIJLi8ELi32ELi1EEEENSD_IJLi1ELi0ELi2EEEESF_Li2ELi16ELi16ELb0ELi0ENSD_IJLi4ELi64ELi1EEEESF_SF_Li2ELi32ELi32ELb0ELi0ELi1ELi1ENSD_IJLi1ELi32ELi1ELi8EEEELi4ELNS_26BlockGemmPipelineSchedulerE0ELNS_24BlockGemmPipelineVersionE2ES6_S6_Lb0ELb0ELi0EEELb1ELNS_25InMemoryDataOperationEnumE1ELi1ELNS_10TailNumberE0EEEvNT_8ArgumentE, .Lfunc_end2-_ZN2ck45kernel_gemm_xdl_cshuffle_v3_b_preshuffle_2ldsINS_41GridwiseGemm_xdl_cshuffle_v3_b_preshuffleINS_13tensor_layout4gemm8RowMajorENS3_11ColumnMajorES4_NS_9f8_fnuz_tENS_7pk_i4_tEfDF16_DF16_NS_16tensor_operation12element_wise11PassThroughESA_SA_LNS8_6device18GemmSpecializationE0ELi256ELi256ELi256ELi128ELi16ELi32ELi16ELi16ELi8ELi8ENS_8SequenceIJLi8ELi32ELi1EEEENSD_IJLi1ELi0ELi2EEEESF_Li2ELi16ELi16ELb0ELi0ENSD_IJLi4ELi64ELi1EEEESF_SF_Li2ELi32ELi32ELb0ELi0ELi1ELi1ENSD_IJLi1ELi32ELi1ELi8EEEELi4ELNS_26BlockGemmPipelineSchedulerE0ELNS_24BlockGemmPipelineVersionE2ES6_S6_Lb0ELb0ELi0EEELb1ELNS_25InMemoryDataOperationEnumE1ELi1ELNS_10TailNumberE0EEEvNT_8ArgumentE
                                        ; -- End function
	.set _ZN2ck45kernel_gemm_xdl_cshuffle_v3_b_preshuffle_2ldsINS_41GridwiseGemm_xdl_cshuffle_v3_b_preshuffleINS_13tensor_layout4gemm8RowMajorENS3_11ColumnMajorES4_NS_9f8_fnuz_tENS_7pk_i4_tEfDF16_DF16_NS_16tensor_operation12element_wise11PassThroughESA_SA_LNS8_6device18GemmSpecializationE0ELi256ELi256ELi256ELi128ELi16ELi32ELi16ELi16ELi8ELi8ENS_8SequenceIJLi8ELi32ELi1EEEENSD_IJLi1ELi0ELi2EEEESF_Li2ELi16ELi16ELb0ELi0ENSD_IJLi4ELi64ELi1EEEESF_SF_Li2ELi32ELi32ELb0ELi0ELi1ELi1ENSD_IJLi1ELi32ELi1ELi8EEEELi4ELNS_26BlockGemmPipelineSchedulerE0ELNS_24BlockGemmPipelineVersionE2ES6_S6_Lb0ELb0ELi0EEELb1ELNS_25InMemoryDataOperationEnumE1ELi1ELNS_10TailNumberE0EEEvNT_8ArgumentE.num_vgpr, max(34, .L_ZNK2ck52BlockwiseGemmXdlops_pipeline_bpreshuffle_bdequant_v3ILNS_26BlockGemmPipelineSchedulerE0ELi256ENS_9f8_fnuz_tENS_7pk_i4_tES2_fNS_16TensorDescriptorINS_5TupleIJNS_5EmbedINS5_IJNS_17integral_constantIiLi8EEENS7_IiLi256EEENS7_IiLi16EEEEEENS5_IJSA_NS7_IiLi128EEENS7_IiLi1EEEEEELb0EEENS_3XorINS5_IJS9_S8_EEELb1EEENS_11PassThroughISA_EENS_7UnMergeINS5_IJS8_SD_EEELb0EEENSJ_IS9_EESK_NSJ_IS8_EENS_21Merge_v3_division_modINS5_IJS9_SD_EEEEESK_EEENS5_IJNS_8SequenceIJLi0EEEENSU_IJLi2ELi1EEEENSU_IJLi3EEEENSU_IJLi5EEEENSU_IJLi4EEEENSU_IJLi6EEEENSU_IJLi7EEEENSU_IJLi9ELi8EEEENSU_IJLi10EEEEEEENS5_IJNSU_IJLi1ELi2ELi3EEEENSU_IJLi4ELi5EEEES10_NSU_IJLi7ELi8EEEENSU_IJLi9EEEES13_NSU_IJLi11EEEENSU_IJLi12EEEENSU_IJLi13EEEEEEENSU_IJLi11ELi12ELi13EEEENS7_IlLl32768EEEEENS4_INS5_IJNSL_INS5_IJS8_SD_SD_NS7_IiLi32EEEEEELb0EEEEEENS5_IJSV_EEENS5_IJNSU_IJLi1ELi2ELi3ELi4EEEEEEES1L_NS7_IlLl256EEEEENS4_INS5_IJSF_SI_SK_SN_SO_SK_SP_SS_SK_NSQ_INS5_IJS8_SA_EEEEENSL_INS5_IJS8_NS7_IiLi2EEESA_EEELb0EEEEEENS5_IJSV_SW_SX_SY_SZ_S10_S11_S12_S13_NSU_IJLi11ELi13EEEES1A_EEENS5_IJS15_S16_S10_S17_S18_S13_S19_S1A_S1B_NSU_IJLi14EEEENSU_IJLi15ELi16ELi17EEEEEEENSU_IJLi15ELi16ELi17ELi14EEEES1E_EENS4_INS5_IJS1I_NSQ_ISM_EES1T_EEENS5_IJSV_NSU_IJLi1ELi3EEEENSU_IJLi2EEEEEEENS5_IJS1L_SY_NSU_IJLi6ELi7ELi8EEEEEEENSU_IJLi6ELi7ELi8ELi5EEEES1N_EELi16ELi32ELi256ELi256ELi128ELi16ELi16ELi8ELi8ELi32ELb0EE3RunILb1ELNS_10TailNumberE0ENS4_INS5_IJNS6_INS5_IJiiEEENS5_IJiSD_EEELb0EEENSL_IS2E_Lb0EEENSJ_IiEEEEENS5_IJSV_S25_NSU_IJLi1EEEEEEENS5_IJNSU_IJLi1ELi2EEEENSU_IJLi3ELi4EEEESY_EEENSU_IJLi3ELi5ELi4EEEElEES1F_NS_35ThreadGroupTensorSliceTransfer_v4r1INS_15ThisThreadBlockILi256EEENS_16tensor_operation12element_wise11PassThroughES2W_LNS_25InMemoryDataOperationEnumE0ENSU_IJLi8ELi256ELi16EEEENSU_IJLi8ELi32ELi1EEEENSU_IJLi1ELi0ELi2EEEES2_S2_RKS2Q_KS1F_S30_NSU_IJLi0ELi1ELi2EEEELi2ELi2ELi16ELi16ELi1ELi1ELb0ELb1ELi2EiEENS_13DynamicBufferILNS_16AddressSpaceEnumE1EKS2_lLb1ELNS_22AmdBufferCoherenceEnumE0EiEENS5_IJNS36_ILS37_2ES2_S1E_Lb1ELS39_0EiEES3B_EEENS5_IJiiiEEENS4_INS5_IJNS6_INS5_IJiiiiEEENS5_IJiiiSD_EEELb0EEEEEES1K_S1M_S1L_lEENS_32ThreadwiseTensorSliceTransfer_v2IS3_S3_RKS3I_KS1O_NSU_IJLi8ELi1ELi1ELi32EEEENSU_IJLi1ELi2ELi0ELi3EEEELi3ELi32ELi0ELb1ELb0ELb0EEENS36_ILS37_1EKS3_lLb1ELS39_0EiEENS5_IJNS_12StaticBufferILS37_4ES3_Li256ELb1EEES3T_EEES3E_NS_25StaticBufferTupleOfVectorILS37_4EfLi64ELi4ELb1ELb0EEEEEvRKT1_RKT2_RT3_RKT4_RT5_RKT6_RKT7_RT8_RKT9_RT10_RKT11_RT12_i.num_vgpr)
	.set _ZN2ck45kernel_gemm_xdl_cshuffle_v3_b_preshuffle_2ldsINS_41GridwiseGemm_xdl_cshuffle_v3_b_preshuffleINS_13tensor_layout4gemm8RowMajorENS3_11ColumnMajorES4_NS_9f8_fnuz_tENS_7pk_i4_tEfDF16_DF16_NS_16tensor_operation12element_wise11PassThroughESA_SA_LNS8_6device18GemmSpecializationE0ELi256ELi256ELi256ELi128ELi16ELi32ELi16ELi16ELi8ELi8ENS_8SequenceIJLi8ELi32ELi1EEEENSD_IJLi1ELi0ELi2EEEESF_Li2ELi16ELi16ELb0ELi0ENSD_IJLi4ELi64ELi1EEEESF_SF_Li2ELi32ELi32ELb0ELi0ELi1ELi1ENSD_IJLi1ELi32ELi1ELi8EEEELi4ELNS_26BlockGemmPipelineSchedulerE0ELNS_24BlockGemmPipelineVersionE2ES6_S6_Lb0ELb0ELi0EEELb1ELNS_25InMemoryDataOperationEnumE1ELi1ELNS_10TailNumberE0EEEvNT_8ArgumentE.num_agpr, max(50, .L_ZNK2ck52BlockwiseGemmXdlops_pipeline_bpreshuffle_bdequant_v3ILNS_26BlockGemmPipelineSchedulerE0ELi256ENS_9f8_fnuz_tENS_7pk_i4_tES2_fNS_16TensorDescriptorINS_5TupleIJNS_5EmbedINS5_IJNS_17integral_constantIiLi8EEENS7_IiLi256EEENS7_IiLi16EEEEEENS5_IJSA_NS7_IiLi128EEENS7_IiLi1EEEEEELb0EEENS_3XorINS5_IJS9_S8_EEELb1EEENS_11PassThroughISA_EENS_7UnMergeINS5_IJS8_SD_EEELb0EEENSJ_IS9_EESK_NSJ_IS8_EENS_21Merge_v3_division_modINS5_IJS9_SD_EEEEESK_EEENS5_IJNS_8SequenceIJLi0EEEENSU_IJLi2ELi1EEEENSU_IJLi3EEEENSU_IJLi5EEEENSU_IJLi4EEEENSU_IJLi6EEEENSU_IJLi7EEEENSU_IJLi9ELi8EEEENSU_IJLi10EEEEEEENS5_IJNSU_IJLi1ELi2ELi3EEEENSU_IJLi4ELi5EEEES10_NSU_IJLi7ELi8EEEENSU_IJLi9EEEES13_NSU_IJLi11EEEENSU_IJLi12EEEENSU_IJLi13EEEEEEENSU_IJLi11ELi12ELi13EEEENS7_IlLl32768EEEEENS4_INS5_IJNSL_INS5_IJS8_SD_SD_NS7_IiLi32EEEEEELb0EEEEEENS5_IJSV_EEENS5_IJNSU_IJLi1ELi2ELi3ELi4EEEEEEES1L_NS7_IlLl256EEEEENS4_INS5_IJSF_SI_SK_SN_SO_SK_SP_SS_SK_NSQ_INS5_IJS8_SA_EEEEENSL_INS5_IJS8_NS7_IiLi2EEESA_EEELb0EEEEEENS5_IJSV_SW_SX_SY_SZ_S10_S11_S12_S13_NSU_IJLi11ELi13EEEES1A_EEENS5_IJS15_S16_S10_S17_S18_S13_S19_S1A_S1B_NSU_IJLi14EEEENSU_IJLi15ELi16ELi17EEEEEEENSU_IJLi15ELi16ELi17ELi14EEEES1E_EENS4_INS5_IJS1I_NSQ_ISM_EES1T_EEENS5_IJSV_NSU_IJLi1ELi3EEEENSU_IJLi2EEEEEEENS5_IJS1L_SY_NSU_IJLi6ELi7ELi8EEEEEEENSU_IJLi6ELi7ELi8ELi5EEEES1N_EELi16ELi32ELi256ELi256ELi128ELi16ELi16ELi8ELi8ELi32ELb0EE3RunILb1ELNS_10TailNumberE0ENS4_INS5_IJNS6_INS5_IJiiEEENS5_IJiSD_EEELb0EEENSL_IS2E_Lb0EEENSJ_IiEEEEENS5_IJSV_S25_NSU_IJLi1EEEEEEENS5_IJNSU_IJLi1ELi2EEEENSU_IJLi3ELi4EEEESY_EEENSU_IJLi3ELi5ELi4EEEElEES1F_NS_35ThreadGroupTensorSliceTransfer_v4r1INS_15ThisThreadBlockILi256EEENS_16tensor_operation12element_wise11PassThroughES2W_LNS_25InMemoryDataOperationEnumE0ENSU_IJLi8ELi256ELi16EEEENSU_IJLi8ELi32ELi1EEEENSU_IJLi1ELi0ELi2EEEES2_S2_RKS2Q_KS1F_S30_NSU_IJLi0ELi1ELi2EEEELi2ELi2ELi16ELi16ELi1ELi1ELb0ELb1ELi2EiEENS_13DynamicBufferILNS_16AddressSpaceEnumE1EKS2_lLb1ELNS_22AmdBufferCoherenceEnumE0EiEENS5_IJNS36_ILS37_2ES2_S1E_Lb1ELS39_0EiEES3B_EEENS5_IJiiiEEENS4_INS5_IJNS6_INS5_IJiiiiEEENS5_IJiiiSD_EEELb0EEEEEES1K_S1M_S1L_lEENS_32ThreadwiseTensorSliceTransfer_v2IS3_S3_RKS3I_KS1O_NSU_IJLi8ELi1ELi1ELi32EEEENSU_IJLi1ELi2ELi0ELi3EEEELi3ELi32ELi0ELb1ELb0ELb0EEENS36_ILS37_1EKS3_lLb1ELS39_0EiEENS5_IJNS_12StaticBufferILS37_4ES3_Li256ELb1EEES3T_EEES3E_NS_25StaticBufferTupleOfVectorILS37_4EfLi64ELi4ELb1ELb0EEEEEvRKT1_RKT2_RT3_RKT4_RT5_RKT6_RKT7_RT8_RKT9_RT10_RKT11_RT12_i.num_agpr)
	.set _ZN2ck45kernel_gemm_xdl_cshuffle_v3_b_preshuffle_2ldsINS_41GridwiseGemm_xdl_cshuffle_v3_b_preshuffleINS_13tensor_layout4gemm8RowMajorENS3_11ColumnMajorES4_NS_9f8_fnuz_tENS_7pk_i4_tEfDF16_DF16_NS_16tensor_operation12element_wise11PassThroughESA_SA_LNS8_6device18GemmSpecializationE0ELi256ELi256ELi256ELi128ELi16ELi32ELi16ELi16ELi8ELi8ENS_8SequenceIJLi8ELi32ELi1EEEENSD_IJLi1ELi0ELi2EEEESF_Li2ELi16ELi16ELb0ELi0ENSD_IJLi4ELi64ELi1EEEESF_SF_Li2ELi32ELi32ELb0ELi0ELi1ELi1ENSD_IJLi1ELi32ELi1ELi8EEEELi4ELNS_26BlockGemmPipelineSchedulerE0ELNS_24BlockGemmPipelineVersionE2ES6_S6_Lb0ELb0ELi0EEELb1ELNS_25InMemoryDataOperationEnumE1ELi1ELNS_10TailNumberE0EEEvNT_8ArgumentE.numbered_sgpr, max(40, .L_ZNK2ck52BlockwiseGemmXdlops_pipeline_bpreshuffle_bdequant_v3ILNS_26BlockGemmPipelineSchedulerE0ELi256ENS_9f8_fnuz_tENS_7pk_i4_tES2_fNS_16TensorDescriptorINS_5TupleIJNS_5EmbedINS5_IJNS_17integral_constantIiLi8EEENS7_IiLi256EEENS7_IiLi16EEEEEENS5_IJSA_NS7_IiLi128EEENS7_IiLi1EEEEEELb0EEENS_3XorINS5_IJS9_S8_EEELb1EEENS_11PassThroughISA_EENS_7UnMergeINS5_IJS8_SD_EEELb0EEENSJ_IS9_EESK_NSJ_IS8_EENS_21Merge_v3_division_modINS5_IJS9_SD_EEEEESK_EEENS5_IJNS_8SequenceIJLi0EEEENSU_IJLi2ELi1EEEENSU_IJLi3EEEENSU_IJLi5EEEENSU_IJLi4EEEENSU_IJLi6EEEENSU_IJLi7EEEENSU_IJLi9ELi8EEEENSU_IJLi10EEEEEEENS5_IJNSU_IJLi1ELi2ELi3EEEENSU_IJLi4ELi5EEEES10_NSU_IJLi7ELi8EEEENSU_IJLi9EEEES13_NSU_IJLi11EEEENSU_IJLi12EEEENSU_IJLi13EEEEEEENSU_IJLi11ELi12ELi13EEEENS7_IlLl32768EEEEENS4_INS5_IJNSL_INS5_IJS8_SD_SD_NS7_IiLi32EEEEEELb0EEEEEENS5_IJSV_EEENS5_IJNSU_IJLi1ELi2ELi3ELi4EEEEEEES1L_NS7_IlLl256EEEEENS4_INS5_IJSF_SI_SK_SN_SO_SK_SP_SS_SK_NSQ_INS5_IJS8_SA_EEEEENSL_INS5_IJS8_NS7_IiLi2EEESA_EEELb0EEEEEENS5_IJSV_SW_SX_SY_SZ_S10_S11_S12_S13_NSU_IJLi11ELi13EEEES1A_EEENS5_IJS15_S16_S10_S17_S18_S13_S19_S1A_S1B_NSU_IJLi14EEEENSU_IJLi15ELi16ELi17EEEEEEENSU_IJLi15ELi16ELi17ELi14EEEES1E_EENS4_INS5_IJS1I_NSQ_ISM_EES1T_EEENS5_IJSV_NSU_IJLi1ELi3EEEENSU_IJLi2EEEEEEENS5_IJS1L_SY_NSU_IJLi6ELi7ELi8EEEEEEENSU_IJLi6ELi7ELi8ELi5EEEES1N_EELi16ELi32ELi256ELi256ELi128ELi16ELi16ELi8ELi8ELi32ELb0EE3RunILb1ELNS_10TailNumberE0ENS4_INS5_IJNS6_INS5_IJiiEEENS5_IJiSD_EEELb0EEENSL_IS2E_Lb0EEENSJ_IiEEEEENS5_IJSV_S25_NSU_IJLi1EEEEEEENS5_IJNSU_IJLi1ELi2EEEENSU_IJLi3ELi4EEEESY_EEENSU_IJLi3ELi5ELi4EEEElEES1F_NS_35ThreadGroupTensorSliceTransfer_v4r1INS_15ThisThreadBlockILi256EEENS_16tensor_operation12element_wise11PassThroughES2W_LNS_25InMemoryDataOperationEnumE0ENSU_IJLi8ELi256ELi16EEEENSU_IJLi8ELi32ELi1EEEENSU_IJLi1ELi0ELi2EEEES2_S2_RKS2Q_KS1F_S30_NSU_IJLi0ELi1ELi2EEEELi2ELi2ELi16ELi16ELi1ELi1ELb0ELb1ELi2EiEENS_13DynamicBufferILNS_16AddressSpaceEnumE1EKS2_lLb1ELNS_22AmdBufferCoherenceEnumE0EiEENS5_IJNS36_ILS37_2ES2_S1E_Lb1ELS39_0EiEES3B_EEENS5_IJiiiEEENS4_INS5_IJNS6_INS5_IJiiiiEEENS5_IJiiiSD_EEELb0EEEEEES1K_S1M_S1L_lEENS_32ThreadwiseTensorSliceTransfer_v2IS3_S3_RKS3I_KS1O_NSU_IJLi8ELi1ELi1ELi32EEEENSU_IJLi1ELi2ELi0ELi3EEEELi3ELi32ELi0ELb1ELb0ELb0EEENS36_ILS37_1EKS3_lLb1ELS39_0EiEENS5_IJNS_12StaticBufferILS37_4ES3_Li256ELb1EEES3T_EEES3E_NS_25StaticBufferTupleOfVectorILS37_4EfLi64ELi4ELb1ELb0EEEEEvRKT1_RKT2_RT3_RKT4_RT5_RKT6_RKT7_RT8_RKT9_RT10_RKT11_RT12_i.numbered_sgpr)
	.set _ZN2ck45kernel_gemm_xdl_cshuffle_v3_b_preshuffle_2ldsINS_41GridwiseGemm_xdl_cshuffle_v3_b_preshuffleINS_13tensor_layout4gemm8RowMajorENS3_11ColumnMajorES4_NS_9f8_fnuz_tENS_7pk_i4_tEfDF16_DF16_NS_16tensor_operation12element_wise11PassThroughESA_SA_LNS8_6device18GemmSpecializationE0ELi256ELi256ELi256ELi128ELi16ELi32ELi16ELi16ELi8ELi8ENS_8SequenceIJLi8ELi32ELi1EEEENSD_IJLi1ELi0ELi2EEEESF_Li2ELi16ELi16ELb0ELi0ENSD_IJLi4ELi64ELi1EEEESF_SF_Li2ELi32ELi32ELb0ELi0ELi1ELi1ENSD_IJLi1ELi32ELi1ELi8EEEELi4ELNS_26BlockGemmPipelineSchedulerE0ELNS_24BlockGemmPipelineVersionE2ES6_S6_Lb0ELb0ELi0EEELb1ELNS_25InMemoryDataOperationEnumE1ELi1ELNS_10TailNumberE0EEEvNT_8ArgumentE.num_named_barrier, max(0, .L_ZNK2ck52BlockwiseGemmXdlops_pipeline_bpreshuffle_bdequant_v3ILNS_26BlockGemmPipelineSchedulerE0ELi256ENS_9f8_fnuz_tENS_7pk_i4_tES2_fNS_16TensorDescriptorINS_5TupleIJNS_5EmbedINS5_IJNS_17integral_constantIiLi8EEENS7_IiLi256EEENS7_IiLi16EEEEEENS5_IJSA_NS7_IiLi128EEENS7_IiLi1EEEEEELb0EEENS_3XorINS5_IJS9_S8_EEELb1EEENS_11PassThroughISA_EENS_7UnMergeINS5_IJS8_SD_EEELb0EEENSJ_IS9_EESK_NSJ_IS8_EENS_21Merge_v3_division_modINS5_IJS9_SD_EEEEESK_EEENS5_IJNS_8SequenceIJLi0EEEENSU_IJLi2ELi1EEEENSU_IJLi3EEEENSU_IJLi5EEEENSU_IJLi4EEEENSU_IJLi6EEEENSU_IJLi7EEEENSU_IJLi9ELi8EEEENSU_IJLi10EEEEEEENS5_IJNSU_IJLi1ELi2ELi3EEEENSU_IJLi4ELi5EEEES10_NSU_IJLi7ELi8EEEENSU_IJLi9EEEES13_NSU_IJLi11EEEENSU_IJLi12EEEENSU_IJLi13EEEEEEENSU_IJLi11ELi12ELi13EEEENS7_IlLl32768EEEEENS4_INS5_IJNSL_INS5_IJS8_SD_SD_NS7_IiLi32EEEEEELb0EEEEEENS5_IJSV_EEENS5_IJNSU_IJLi1ELi2ELi3ELi4EEEEEEES1L_NS7_IlLl256EEEEENS4_INS5_IJSF_SI_SK_SN_SO_SK_SP_SS_SK_NSQ_INS5_IJS8_SA_EEEEENSL_INS5_IJS8_NS7_IiLi2EEESA_EEELb0EEEEEENS5_IJSV_SW_SX_SY_SZ_S10_S11_S12_S13_NSU_IJLi11ELi13EEEES1A_EEENS5_IJS15_S16_S10_S17_S18_S13_S19_S1A_S1B_NSU_IJLi14EEEENSU_IJLi15ELi16ELi17EEEEEEENSU_IJLi15ELi16ELi17ELi14EEEES1E_EENS4_INS5_IJS1I_NSQ_ISM_EES1T_EEENS5_IJSV_NSU_IJLi1ELi3EEEENSU_IJLi2EEEEEEENS5_IJS1L_SY_NSU_IJLi6ELi7ELi8EEEEEEENSU_IJLi6ELi7ELi8ELi5EEEES1N_EELi16ELi32ELi256ELi256ELi128ELi16ELi16ELi8ELi8ELi32ELb0EE3RunILb1ELNS_10TailNumberE0ENS4_INS5_IJNS6_INS5_IJiiEEENS5_IJiSD_EEELb0EEENSL_IS2E_Lb0EEENSJ_IiEEEEENS5_IJSV_S25_NSU_IJLi1EEEEEEENS5_IJNSU_IJLi1ELi2EEEENSU_IJLi3ELi4EEEESY_EEENSU_IJLi3ELi5ELi4EEEElEES1F_NS_35ThreadGroupTensorSliceTransfer_v4r1INS_15ThisThreadBlockILi256EEENS_16tensor_operation12element_wise11PassThroughES2W_LNS_25InMemoryDataOperationEnumE0ENSU_IJLi8ELi256ELi16EEEENSU_IJLi8ELi32ELi1EEEENSU_IJLi1ELi0ELi2EEEES2_S2_RKS2Q_KS1F_S30_NSU_IJLi0ELi1ELi2EEEELi2ELi2ELi16ELi16ELi1ELi1ELb0ELb1ELi2EiEENS_13DynamicBufferILNS_16AddressSpaceEnumE1EKS2_lLb1ELNS_22AmdBufferCoherenceEnumE0EiEENS5_IJNS36_ILS37_2ES2_S1E_Lb1ELS39_0EiEES3B_EEENS5_IJiiiEEENS4_INS5_IJNS6_INS5_IJiiiiEEENS5_IJiiiSD_EEELb0EEEEEES1K_S1M_S1L_lEENS_32ThreadwiseTensorSliceTransfer_v2IS3_S3_RKS3I_KS1O_NSU_IJLi8ELi1ELi1ELi32EEEENSU_IJLi1ELi2ELi0ELi3EEEELi3ELi32ELi0ELb1ELb0ELb0EEENS36_ILS37_1EKS3_lLb1ELS39_0EiEENS5_IJNS_12StaticBufferILS37_4ES3_Li256ELb1EEES3T_EEES3E_NS_25StaticBufferTupleOfVectorILS37_4EfLi64ELi4ELb1ELb0EEEEEvRKT1_RKT2_RT3_RKT4_RT5_RKT6_RKT7_RT8_RKT9_RT10_RKT11_RT12_i.num_named_barrier)
	.set _ZN2ck45kernel_gemm_xdl_cshuffle_v3_b_preshuffle_2ldsINS_41GridwiseGemm_xdl_cshuffle_v3_b_preshuffleINS_13tensor_layout4gemm8RowMajorENS3_11ColumnMajorES4_NS_9f8_fnuz_tENS_7pk_i4_tEfDF16_DF16_NS_16tensor_operation12element_wise11PassThroughESA_SA_LNS8_6device18GemmSpecializationE0ELi256ELi256ELi256ELi128ELi16ELi32ELi16ELi16ELi8ELi8ENS_8SequenceIJLi8ELi32ELi1EEEENSD_IJLi1ELi0ELi2EEEESF_Li2ELi16ELi16ELb0ELi0ENSD_IJLi4ELi64ELi1EEEESF_SF_Li2ELi32ELi32ELb0ELi0ELi1ELi1ENSD_IJLi1ELi32ELi1ELi8EEEELi4ELNS_26BlockGemmPipelineSchedulerE0ELNS_24BlockGemmPipelineVersionE2ES6_S6_Lb0ELb0ELi0EEELb1ELNS_25InMemoryDataOperationEnumE1ELi1ELNS_10TailNumberE0EEEvNT_8ArgumentE.private_seg_size, 3312+max(.L_ZNK2ck52BlockwiseGemmXdlops_pipeline_bpreshuffle_bdequant_v3ILNS_26BlockGemmPipelineSchedulerE0ELi256ENS_9f8_fnuz_tENS_7pk_i4_tES2_fNS_16TensorDescriptorINS_5TupleIJNS_5EmbedINS5_IJNS_17integral_constantIiLi8EEENS7_IiLi256EEENS7_IiLi16EEEEEENS5_IJSA_NS7_IiLi128EEENS7_IiLi1EEEEEELb0EEENS_3XorINS5_IJS9_S8_EEELb1EEENS_11PassThroughISA_EENS_7UnMergeINS5_IJS8_SD_EEELb0EEENSJ_IS9_EESK_NSJ_IS8_EENS_21Merge_v3_division_modINS5_IJS9_SD_EEEEESK_EEENS5_IJNS_8SequenceIJLi0EEEENSU_IJLi2ELi1EEEENSU_IJLi3EEEENSU_IJLi5EEEENSU_IJLi4EEEENSU_IJLi6EEEENSU_IJLi7EEEENSU_IJLi9ELi8EEEENSU_IJLi10EEEEEEENS5_IJNSU_IJLi1ELi2ELi3EEEENSU_IJLi4ELi5EEEES10_NSU_IJLi7ELi8EEEENSU_IJLi9EEEES13_NSU_IJLi11EEEENSU_IJLi12EEEENSU_IJLi13EEEEEEENSU_IJLi11ELi12ELi13EEEENS7_IlLl32768EEEEENS4_INS5_IJNSL_INS5_IJS8_SD_SD_NS7_IiLi32EEEEEELb0EEEEEENS5_IJSV_EEENS5_IJNSU_IJLi1ELi2ELi3ELi4EEEEEEES1L_NS7_IlLl256EEEEENS4_INS5_IJSF_SI_SK_SN_SO_SK_SP_SS_SK_NSQ_INS5_IJS8_SA_EEEEENSL_INS5_IJS8_NS7_IiLi2EEESA_EEELb0EEEEEENS5_IJSV_SW_SX_SY_SZ_S10_S11_S12_S13_NSU_IJLi11ELi13EEEES1A_EEENS5_IJS15_S16_S10_S17_S18_S13_S19_S1A_S1B_NSU_IJLi14EEEENSU_IJLi15ELi16ELi17EEEEEEENSU_IJLi15ELi16ELi17ELi14EEEES1E_EENS4_INS5_IJS1I_NSQ_ISM_EES1T_EEENS5_IJSV_NSU_IJLi1ELi3EEEENSU_IJLi2EEEEEEENS5_IJS1L_SY_NSU_IJLi6ELi7ELi8EEEEEEENSU_IJLi6ELi7ELi8ELi5EEEES1N_EELi16ELi32ELi256ELi256ELi128ELi16ELi16ELi8ELi8ELi32ELb0EE3RunILb1ELNS_10TailNumberE0ENS4_INS5_IJNS6_INS5_IJiiEEENS5_IJiSD_EEELb0EEENSL_IS2E_Lb0EEENSJ_IiEEEEENS5_IJSV_S25_NSU_IJLi1EEEEEEENS5_IJNSU_IJLi1ELi2EEEENSU_IJLi3ELi4EEEESY_EEENSU_IJLi3ELi5ELi4EEEElEES1F_NS_35ThreadGroupTensorSliceTransfer_v4r1INS_15ThisThreadBlockILi256EEENS_16tensor_operation12element_wise11PassThroughES2W_LNS_25InMemoryDataOperationEnumE0ENSU_IJLi8ELi256ELi16EEEENSU_IJLi8ELi32ELi1EEEENSU_IJLi1ELi0ELi2EEEES2_S2_RKS2Q_KS1F_S30_NSU_IJLi0ELi1ELi2EEEELi2ELi2ELi16ELi16ELi1ELi1ELb0ELb1ELi2EiEENS_13DynamicBufferILNS_16AddressSpaceEnumE1EKS2_lLb1ELNS_22AmdBufferCoherenceEnumE0EiEENS5_IJNS36_ILS37_2ES2_S1E_Lb1ELS39_0EiEES3B_EEENS5_IJiiiEEENS4_INS5_IJNS6_INS5_IJiiiiEEENS5_IJiiiSD_EEELb0EEEEEES1K_S1M_S1L_lEENS_32ThreadwiseTensorSliceTransfer_v2IS3_S3_RKS3I_KS1O_NSU_IJLi8ELi1ELi1ELi32EEEENSU_IJLi1ELi2ELi0ELi3EEEELi3ELi32ELi0ELb1ELb0ELb0EEENS36_ILS37_1EKS3_lLb1ELS39_0EiEENS5_IJNS_12StaticBufferILS37_4ES3_Li256ELb1EEES3T_EEES3E_NS_25StaticBufferTupleOfVectorILS37_4EfLi64ELi4ELb1ELb0EEEEEvRKT1_RKT2_RT3_RKT4_RT5_RKT6_RKT7_RT8_RKT9_RT10_RKT11_RT12_i.private_seg_size)
	.set _ZN2ck45kernel_gemm_xdl_cshuffle_v3_b_preshuffle_2ldsINS_41GridwiseGemm_xdl_cshuffle_v3_b_preshuffleINS_13tensor_layout4gemm8RowMajorENS3_11ColumnMajorES4_NS_9f8_fnuz_tENS_7pk_i4_tEfDF16_DF16_NS_16tensor_operation12element_wise11PassThroughESA_SA_LNS8_6device18GemmSpecializationE0ELi256ELi256ELi256ELi128ELi16ELi32ELi16ELi16ELi8ELi8ENS_8SequenceIJLi8ELi32ELi1EEEENSD_IJLi1ELi0ELi2EEEESF_Li2ELi16ELi16ELb0ELi0ENSD_IJLi4ELi64ELi1EEEESF_SF_Li2ELi32ELi32ELb0ELi0ELi1ELi1ENSD_IJLi1ELi32ELi1ELi8EEEELi4ELNS_26BlockGemmPipelineSchedulerE0ELNS_24BlockGemmPipelineVersionE2ES6_S6_Lb0ELb0ELi0EEELb1ELNS_25InMemoryDataOperationEnumE1ELi1ELNS_10TailNumberE0EEEvNT_8ArgumentE.uses_vcc, or(1, .L_ZNK2ck52BlockwiseGemmXdlops_pipeline_bpreshuffle_bdequant_v3ILNS_26BlockGemmPipelineSchedulerE0ELi256ENS_9f8_fnuz_tENS_7pk_i4_tES2_fNS_16TensorDescriptorINS_5TupleIJNS_5EmbedINS5_IJNS_17integral_constantIiLi8EEENS7_IiLi256EEENS7_IiLi16EEEEEENS5_IJSA_NS7_IiLi128EEENS7_IiLi1EEEEEELb0EEENS_3XorINS5_IJS9_S8_EEELb1EEENS_11PassThroughISA_EENS_7UnMergeINS5_IJS8_SD_EEELb0EEENSJ_IS9_EESK_NSJ_IS8_EENS_21Merge_v3_division_modINS5_IJS9_SD_EEEEESK_EEENS5_IJNS_8SequenceIJLi0EEEENSU_IJLi2ELi1EEEENSU_IJLi3EEEENSU_IJLi5EEEENSU_IJLi4EEEENSU_IJLi6EEEENSU_IJLi7EEEENSU_IJLi9ELi8EEEENSU_IJLi10EEEEEEENS5_IJNSU_IJLi1ELi2ELi3EEEENSU_IJLi4ELi5EEEES10_NSU_IJLi7ELi8EEEENSU_IJLi9EEEES13_NSU_IJLi11EEEENSU_IJLi12EEEENSU_IJLi13EEEEEEENSU_IJLi11ELi12ELi13EEEENS7_IlLl32768EEEEENS4_INS5_IJNSL_INS5_IJS8_SD_SD_NS7_IiLi32EEEEEELb0EEEEEENS5_IJSV_EEENS5_IJNSU_IJLi1ELi2ELi3ELi4EEEEEEES1L_NS7_IlLl256EEEEENS4_INS5_IJSF_SI_SK_SN_SO_SK_SP_SS_SK_NSQ_INS5_IJS8_SA_EEEEENSL_INS5_IJS8_NS7_IiLi2EEESA_EEELb0EEEEEENS5_IJSV_SW_SX_SY_SZ_S10_S11_S12_S13_NSU_IJLi11ELi13EEEES1A_EEENS5_IJS15_S16_S10_S17_S18_S13_S19_S1A_S1B_NSU_IJLi14EEEENSU_IJLi15ELi16ELi17EEEEEEENSU_IJLi15ELi16ELi17ELi14EEEES1E_EENS4_INS5_IJS1I_NSQ_ISM_EES1T_EEENS5_IJSV_NSU_IJLi1ELi3EEEENSU_IJLi2EEEEEEENS5_IJS1L_SY_NSU_IJLi6ELi7ELi8EEEEEEENSU_IJLi6ELi7ELi8ELi5EEEES1N_EELi16ELi32ELi256ELi256ELi128ELi16ELi16ELi8ELi8ELi32ELb0EE3RunILb1ELNS_10TailNumberE0ENS4_INS5_IJNS6_INS5_IJiiEEENS5_IJiSD_EEELb0EEENSL_IS2E_Lb0EEENSJ_IiEEEEENS5_IJSV_S25_NSU_IJLi1EEEEEEENS5_IJNSU_IJLi1ELi2EEEENSU_IJLi3ELi4EEEESY_EEENSU_IJLi3ELi5ELi4EEEElEES1F_NS_35ThreadGroupTensorSliceTransfer_v4r1INS_15ThisThreadBlockILi256EEENS_16tensor_operation12element_wise11PassThroughES2W_LNS_25InMemoryDataOperationEnumE0ENSU_IJLi8ELi256ELi16EEEENSU_IJLi8ELi32ELi1EEEENSU_IJLi1ELi0ELi2EEEES2_S2_RKS2Q_KS1F_S30_NSU_IJLi0ELi1ELi2EEEELi2ELi2ELi16ELi16ELi1ELi1ELb0ELb1ELi2EiEENS_13DynamicBufferILNS_16AddressSpaceEnumE1EKS2_lLb1ELNS_22AmdBufferCoherenceEnumE0EiEENS5_IJNS36_ILS37_2ES2_S1E_Lb1ELS39_0EiEES3B_EEENS5_IJiiiEEENS4_INS5_IJNS6_INS5_IJiiiiEEENS5_IJiiiSD_EEELb0EEEEEES1K_S1M_S1L_lEENS_32ThreadwiseTensorSliceTransfer_v2IS3_S3_RKS3I_KS1O_NSU_IJLi8ELi1ELi1ELi32EEEENSU_IJLi1ELi2ELi0ELi3EEEELi3ELi32ELi0ELb1ELb0ELb0EEENS36_ILS37_1EKS3_lLb1ELS39_0EiEENS5_IJNS_12StaticBufferILS37_4ES3_Li256ELb1EEES3T_EEES3E_NS_25StaticBufferTupleOfVectorILS37_4EfLi64ELi4ELb1ELb0EEEEEvRKT1_RKT2_RT3_RKT4_RT5_RKT6_RKT7_RT8_RKT9_RT10_RKT11_RT12_i.uses_vcc)
	.set _ZN2ck45kernel_gemm_xdl_cshuffle_v3_b_preshuffle_2ldsINS_41GridwiseGemm_xdl_cshuffle_v3_b_preshuffleINS_13tensor_layout4gemm8RowMajorENS3_11ColumnMajorES4_NS_9f8_fnuz_tENS_7pk_i4_tEfDF16_DF16_NS_16tensor_operation12element_wise11PassThroughESA_SA_LNS8_6device18GemmSpecializationE0ELi256ELi256ELi256ELi128ELi16ELi32ELi16ELi16ELi8ELi8ENS_8SequenceIJLi8ELi32ELi1EEEENSD_IJLi1ELi0ELi2EEEESF_Li2ELi16ELi16ELb0ELi0ENSD_IJLi4ELi64ELi1EEEESF_SF_Li2ELi32ELi32ELb0ELi0ELi1ELi1ENSD_IJLi1ELi32ELi1ELi8EEEELi4ELNS_26BlockGemmPipelineSchedulerE0ELNS_24BlockGemmPipelineVersionE2ES6_S6_Lb0ELb0ELi0EEELb1ELNS_25InMemoryDataOperationEnumE1ELi1ELNS_10TailNumberE0EEEvNT_8ArgumentE.uses_flat_scratch, or(0, .L_ZNK2ck52BlockwiseGemmXdlops_pipeline_bpreshuffle_bdequant_v3ILNS_26BlockGemmPipelineSchedulerE0ELi256ENS_9f8_fnuz_tENS_7pk_i4_tES2_fNS_16TensorDescriptorINS_5TupleIJNS_5EmbedINS5_IJNS_17integral_constantIiLi8EEENS7_IiLi256EEENS7_IiLi16EEEEEENS5_IJSA_NS7_IiLi128EEENS7_IiLi1EEEEEELb0EEENS_3XorINS5_IJS9_S8_EEELb1EEENS_11PassThroughISA_EENS_7UnMergeINS5_IJS8_SD_EEELb0EEENSJ_IS9_EESK_NSJ_IS8_EENS_21Merge_v3_division_modINS5_IJS9_SD_EEEEESK_EEENS5_IJNS_8SequenceIJLi0EEEENSU_IJLi2ELi1EEEENSU_IJLi3EEEENSU_IJLi5EEEENSU_IJLi4EEEENSU_IJLi6EEEENSU_IJLi7EEEENSU_IJLi9ELi8EEEENSU_IJLi10EEEEEEENS5_IJNSU_IJLi1ELi2ELi3EEEENSU_IJLi4ELi5EEEES10_NSU_IJLi7ELi8EEEENSU_IJLi9EEEES13_NSU_IJLi11EEEENSU_IJLi12EEEENSU_IJLi13EEEEEEENSU_IJLi11ELi12ELi13EEEENS7_IlLl32768EEEEENS4_INS5_IJNSL_INS5_IJS8_SD_SD_NS7_IiLi32EEEEEELb0EEEEEENS5_IJSV_EEENS5_IJNSU_IJLi1ELi2ELi3ELi4EEEEEEES1L_NS7_IlLl256EEEEENS4_INS5_IJSF_SI_SK_SN_SO_SK_SP_SS_SK_NSQ_INS5_IJS8_SA_EEEEENSL_INS5_IJS8_NS7_IiLi2EEESA_EEELb0EEEEEENS5_IJSV_SW_SX_SY_SZ_S10_S11_S12_S13_NSU_IJLi11ELi13EEEES1A_EEENS5_IJS15_S16_S10_S17_S18_S13_S19_S1A_S1B_NSU_IJLi14EEEENSU_IJLi15ELi16ELi17EEEEEEENSU_IJLi15ELi16ELi17ELi14EEEES1E_EENS4_INS5_IJS1I_NSQ_ISM_EES1T_EEENS5_IJSV_NSU_IJLi1ELi3EEEENSU_IJLi2EEEEEEENS5_IJS1L_SY_NSU_IJLi6ELi7ELi8EEEEEEENSU_IJLi6ELi7ELi8ELi5EEEES1N_EELi16ELi32ELi256ELi256ELi128ELi16ELi16ELi8ELi8ELi32ELb0EE3RunILb1ELNS_10TailNumberE0ENS4_INS5_IJNS6_INS5_IJiiEEENS5_IJiSD_EEELb0EEENSL_IS2E_Lb0EEENSJ_IiEEEEENS5_IJSV_S25_NSU_IJLi1EEEEEEENS5_IJNSU_IJLi1ELi2EEEENSU_IJLi3ELi4EEEESY_EEENSU_IJLi3ELi5ELi4EEEElEES1F_NS_35ThreadGroupTensorSliceTransfer_v4r1INS_15ThisThreadBlockILi256EEENS_16tensor_operation12element_wise11PassThroughES2W_LNS_25InMemoryDataOperationEnumE0ENSU_IJLi8ELi256ELi16EEEENSU_IJLi8ELi32ELi1EEEENSU_IJLi1ELi0ELi2EEEES2_S2_RKS2Q_KS1F_S30_NSU_IJLi0ELi1ELi2EEEELi2ELi2ELi16ELi16ELi1ELi1ELb0ELb1ELi2EiEENS_13DynamicBufferILNS_16AddressSpaceEnumE1EKS2_lLb1ELNS_22AmdBufferCoherenceEnumE0EiEENS5_IJNS36_ILS37_2ES2_S1E_Lb1ELS39_0EiEES3B_EEENS5_IJiiiEEENS4_INS5_IJNS6_INS5_IJiiiiEEENS5_IJiiiSD_EEELb0EEEEEES1K_S1M_S1L_lEENS_32ThreadwiseTensorSliceTransfer_v2IS3_S3_RKS3I_KS1O_NSU_IJLi8ELi1ELi1ELi32EEEENSU_IJLi1ELi2ELi0ELi3EEEELi3ELi32ELi0ELb1ELb0ELb0EEENS36_ILS37_1EKS3_lLb1ELS39_0EiEENS5_IJNS_12StaticBufferILS37_4ES3_Li256ELb1EEES3T_EEES3E_NS_25StaticBufferTupleOfVectorILS37_4EfLi64ELi4ELb1ELb0EEEEEvRKT1_RKT2_RT3_RKT4_RT5_RKT6_RKT7_RT8_RKT9_RT10_RKT11_RT12_i.uses_flat_scratch)
	.set _ZN2ck45kernel_gemm_xdl_cshuffle_v3_b_preshuffle_2ldsINS_41GridwiseGemm_xdl_cshuffle_v3_b_preshuffleINS_13tensor_layout4gemm8RowMajorENS3_11ColumnMajorES4_NS_9f8_fnuz_tENS_7pk_i4_tEfDF16_DF16_NS_16tensor_operation12element_wise11PassThroughESA_SA_LNS8_6device18GemmSpecializationE0ELi256ELi256ELi256ELi128ELi16ELi32ELi16ELi16ELi8ELi8ENS_8SequenceIJLi8ELi32ELi1EEEENSD_IJLi1ELi0ELi2EEEESF_Li2ELi16ELi16ELb0ELi0ENSD_IJLi4ELi64ELi1EEEESF_SF_Li2ELi32ELi32ELb0ELi0ELi1ELi1ENSD_IJLi1ELi32ELi1ELi8EEEELi4ELNS_26BlockGemmPipelineSchedulerE0ELNS_24BlockGemmPipelineVersionE2ES6_S6_Lb0ELb0ELi0EEELb1ELNS_25InMemoryDataOperationEnumE1ELi1ELNS_10TailNumberE0EEEvNT_8ArgumentE.has_dyn_sized_stack, or(0, .L_ZNK2ck52BlockwiseGemmXdlops_pipeline_bpreshuffle_bdequant_v3ILNS_26BlockGemmPipelineSchedulerE0ELi256ENS_9f8_fnuz_tENS_7pk_i4_tES2_fNS_16TensorDescriptorINS_5TupleIJNS_5EmbedINS5_IJNS_17integral_constantIiLi8EEENS7_IiLi256EEENS7_IiLi16EEEEEENS5_IJSA_NS7_IiLi128EEENS7_IiLi1EEEEEELb0EEENS_3XorINS5_IJS9_S8_EEELb1EEENS_11PassThroughISA_EENS_7UnMergeINS5_IJS8_SD_EEELb0EEENSJ_IS9_EESK_NSJ_IS8_EENS_21Merge_v3_division_modINS5_IJS9_SD_EEEEESK_EEENS5_IJNS_8SequenceIJLi0EEEENSU_IJLi2ELi1EEEENSU_IJLi3EEEENSU_IJLi5EEEENSU_IJLi4EEEENSU_IJLi6EEEENSU_IJLi7EEEENSU_IJLi9ELi8EEEENSU_IJLi10EEEEEEENS5_IJNSU_IJLi1ELi2ELi3EEEENSU_IJLi4ELi5EEEES10_NSU_IJLi7ELi8EEEENSU_IJLi9EEEES13_NSU_IJLi11EEEENSU_IJLi12EEEENSU_IJLi13EEEEEEENSU_IJLi11ELi12ELi13EEEENS7_IlLl32768EEEEENS4_INS5_IJNSL_INS5_IJS8_SD_SD_NS7_IiLi32EEEEEELb0EEEEEENS5_IJSV_EEENS5_IJNSU_IJLi1ELi2ELi3ELi4EEEEEEES1L_NS7_IlLl256EEEEENS4_INS5_IJSF_SI_SK_SN_SO_SK_SP_SS_SK_NSQ_INS5_IJS8_SA_EEEEENSL_INS5_IJS8_NS7_IiLi2EEESA_EEELb0EEEEEENS5_IJSV_SW_SX_SY_SZ_S10_S11_S12_S13_NSU_IJLi11ELi13EEEES1A_EEENS5_IJS15_S16_S10_S17_S18_S13_S19_S1A_S1B_NSU_IJLi14EEEENSU_IJLi15ELi16ELi17EEEEEEENSU_IJLi15ELi16ELi17ELi14EEEES1E_EENS4_INS5_IJS1I_NSQ_ISM_EES1T_EEENS5_IJSV_NSU_IJLi1ELi3EEEENSU_IJLi2EEEEEEENS5_IJS1L_SY_NSU_IJLi6ELi7ELi8EEEEEEENSU_IJLi6ELi7ELi8ELi5EEEES1N_EELi16ELi32ELi256ELi256ELi128ELi16ELi16ELi8ELi8ELi32ELb0EE3RunILb1ELNS_10TailNumberE0ENS4_INS5_IJNS6_INS5_IJiiEEENS5_IJiSD_EEELb0EEENSL_IS2E_Lb0EEENSJ_IiEEEEENS5_IJSV_S25_NSU_IJLi1EEEEEEENS5_IJNSU_IJLi1ELi2EEEENSU_IJLi3ELi4EEEESY_EEENSU_IJLi3ELi5ELi4EEEElEES1F_NS_35ThreadGroupTensorSliceTransfer_v4r1INS_15ThisThreadBlockILi256EEENS_16tensor_operation12element_wise11PassThroughES2W_LNS_25InMemoryDataOperationEnumE0ENSU_IJLi8ELi256ELi16EEEENSU_IJLi8ELi32ELi1EEEENSU_IJLi1ELi0ELi2EEEES2_S2_RKS2Q_KS1F_S30_NSU_IJLi0ELi1ELi2EEEELi2ELi2ELi16ELi16ELi1ELi1ELb0ELb1ELi2EiEENS_13DynamicBufferILNS_16AddressSpaceEnumE1EKS2_lLb1ELNS_22AmdBufferCoherenceEnumE0EiEENS5_IJNS36_ILS37_2ES2_S1E_Lb1ELS39_0EiEES3B_EEENS5_IJiiiEEENS4_INS5_IJNS6_INS5_IJiiiiEEENS5_IJiiiSD_EEELb0EEEEEES1K_S1M_S1L_lEENS_32ThreadwiseTensorSliceTransfer_v2IS3_S3_RKS3I_KS1O_NSU_IJLi8ELi1ELi1ELi32EEEENSU_IJLi1ELi2ELi0ELi3EEEELi3ELi32ELi0ELb1ELb0ELb0EEENS36_ILS37_1EKS3_lLb1ELS39_0EiEENS5_IJNS_12StaticBufferILS37_4ES3_Li256ELb1EEES3T_EEES3E_NS_25StaticBufferTupleOfVectorILS37_4EfLi64ELi4ELb1ELb0EEEEEvRKT1_RKT2_RT3_RKT4_RT5_RKT6_RKT7_RT8_RKT9_RT10_RKT11_RT12_i.has_dyn_sized_stack)
	.set _ZN2ck45kernel_gemm_xdl_cshuffle_v3_b_preshuffle_2ldsINS_41GridwiseGemm_xdl_cshuffle_v3_b_preshuffleINS_13tensor_layout4gemm8RowMajorENS3_11ColumnMajorES4_NS_9f8_fnuz_tENS_7pk_i4_tEfDF16_DF16_NS_16tensor_operation12element_wise11PassThroughESA_SA_LNS8_6device18GemmSpecializationE0ELi256ELi256ELi256ELi128ELi16ELi32ELi16ELi16ELi8ELi8ENS_8SequenceIJLi8ELi32ELi1EEEENSD_IJLi1ELi0ELi2EEEESF_Li2ELi16ELi16ELb0ELi0ENSD_IJLi4ELi64ELi1EEEESF_SF_Li2ELi32ELi32ELb0ELi0ELi1ELi1ENSD_IJLi1ELi32ELi1ELi8EEEELi4ELNS_26BlockGemmPipelineSchedulerE0ELNS_24BlockGemmPipelineVersionE2ES6_S6_Lb0ELb0ELi0EEELb1ELNS_25InMemoryDataOperationEnumE1ELi1ELNS_10TailNumberE0EEEvNT_8ArgumentE.has_recursion, or(0, .L_ZNK2ck52BlockwiseGemmXdlops_pipeline_bpreshuffle_bdequant_v3ILNS_26BlockGemmPipelineSchedulerE0ELi256ENS_9f8_fnuz_tENS_7pk_i4_tES2_fNS_16TensorDescriptorINS_5TupleIJNS_5EmbedINS5_IJNS_17integral_constantIiLi8EEENS7_IiLi256EEENS7_IiLi16EEEEEENS5_IJSA_NS7_IiLi128EEENS7_IiLi1EEEEEELb0EEENS_3XorINS5_IJS9_S8_EEELb1EEENS_11PassThroughISA_EENS_7UnMergeINS5_IJS8_SD_EEELb0EEENSJ_IS9_EESK_NSJ_IS8_EENS_21Merge_v3_division_modINS5_IJS9_SD_EEEEESK_EEENS5_IJNS_8SequenceIJLi0EEEENSU_IJLi2ELi1EEEENSU_IJLi3EEEENSU_IJLi5EEEENSU_IJLi4EEEENSU_IJLi6EEEENSU_IJLi7EEEENSU_IJLi9ELi8EEEENSU_IJLi10EEEEEEENS5_IJNSU_IJLi1ELi2ELi3EEEENSU_IJLi4ELi5EEEES10_NSU_IJLi7ELi8EEEENSU_IJLi9EEEES13_NSU_IJLi11EEEENSU_IJLi12EEEENSU_IJLi13EEEEEEENSU_IJLi11ELi12ELi13EEEENS7_IlLl32768EEEEENS4_INS5_IJNSL_INS5_IJS8_SD_SD_NS7_IiLi32EEEEEELb0EEEEEENS5_IJSV_EEENS5_IJNSU_IJLi1ELi2ELi3ELi4EEEEEEES1L_NS7_IlLl256EEEEENS4_INS5_IJSF_SI_SK_SN_SO_SK_SP_SS_SK_NSQ_INS5_IJS8_SA_EEEEENSL_INS5_IJS8_NS7_IiLi2EEESA_EEELb0EEEEEENS5_IJSV_SW_SX_SY_SZ_S10_S11_S12_S13_NSU_IJLi11ELi13EEEES1A_EEENS5_IJS15_S16_S10_S17_S18_S13_S19_S1A_S1B_NSU_IJLi14EEEENSU_IJLi15ELi16ELi17EEEEEEENSU_IJLi15ELi16ELi17ELi14EEEES1E_EENS4_INS5_IJS1I_NSQ_ISM_EES1T_EEENS5_IJSV_NSU_IJLi1ELi3EEEENSU_IJLi2EEEEEEENS5_IJS1L_SY_NSU_IJLi6ELi7ELi8EEEEEEENSU_IJLi6ELi7ELi8ELi5EEEES1N_EELi16ELi32ELi256ELi256ELi128ELi16ELi16ELi8ELi8ELi32ELb0EE3RunILb1ELNS_10TailNumberE0ENS4_INS5_IJNS6_INS5_IJiiEEENS5_IJiSD_EEELb0EEENSL_IS2E_Lb0EEENSJ_IiEEEEENS5_IJSV_S25_NSU_IJLi1EEEEEEENS5_IJNSU_IJLi1ELi2EEEENSU_IJLi3ELi4EEEESY_EEENSU_IJLi3ELi5ELi4EEEElEES1F_NS_35ThreadGroupTensorSliceTransfer_v4r1INS_15ThisThreadBlockILi256EEENS_16tensor_operation12element_wise11PassThroughES2W_LNS_25InMemoryDataOperationEnumE0ENSU_IJLi8ELi256ELi16EEEENSU_IJLi8ELi32ELi1EEEENSU_IJLi1ELi0ELi2EEEES2_S2_RKS2Q_KS1F_S30_NSU_IJLi0ELi1ELi2EEEELi2ELi2ELi16ELi16ELi1ELi1ELb0ELb1ELi2EiEENS_13DynamicBufferILNS_16AddressSpaceEnumE1EKS2_lLb1ELNS_22AmdBufferCoherenceEnumE0EiEENS5_IJNS36_ILS37_2ES2_S1E_Lb1ELS39_0EiEES3B_EEENS5_IJiiiEEENS4_INS5_IJNS6_INS5_IJiiiiEEENS5_IJiiiSD_EEELb0EEEEEES1K_S1M_S1L_lEENS_32ThreadwiseTensorSliceTransfer_v2IS3_S3_RKS3I_KS1O_NSU_IJLi8ELi1ELi1ELi32EEEENSU_IJLi1ELi2ELi0ELi3EEEELi3ELi32ELi0ELb1ELb0ELb0EEENS36_ILS37_1EKS3_lLb1ELS39_0EiEENS5_IJNS_12StaticBufferILS37_4ES3_Li256ELb1EEES3T_EEES3E_NS_25StaticBufferTupleOfVectorILS37_4EfLi64ELi4ELb1ELb0EEEEEvRKT1_RKT2_RT3_RKT4_RT5_RKT6_RKT7_RT8_RKT9_RT10_RKT11_RT12_i.has_recursion)
	.set _ZN2ck45kernel_gemm_xdl_cshuffle_v3_b_preshuffle_2ldsINS_41GridwiseGemm_xdl_cshuffle_v3_b_preshuffleINS_13tensor_layout4gemm8RowMajorENS3_11ColumnMajorES4_NS_9f8_fnuz_tENS_7pk_i4_tEfDF16_DF16_NS_16tensor_operation12element_wise11PassThroughESA_SA_LNS8_6device18GemmSpecializationE0ELi256ELi256ELi256ELi128ELi16ELi32ELi16ELi16ELi8ELi8ENS_8SequenceIJLi8ELi32ELi1EEEENSD_IJLi1ELi0ELi2EEEESF_Li2ELi16ELi16ELb0ELi0ENSD_IJLi4ELi64ELi1EEEESF_SF_Li2ELi32ELi32ELb0ELi0ELi1ELi1ENSD_IJLi1ELi32ELi1ELi8EEEELi4ELNS_26BlockGemmPipelineSchedulerE0ELNS_24BlockGemmPipelineVersionE2ES6_S6_Lb0ELb0ELi0EEELb1ELNS_25InMemoryDataOperationEnumE1ELi1ELNS_10TailNumberE0EEEvNT_8ArgumentE.has_indirect_call, or(0, .L_ZNK2ck52BlockwiseGemmXdlops_pipeline_bpreshuffle_bdequant_v3ILNS_26BlockGemmPipelineSchedulerE0ELi256ENS_9f8_fnuz_tENS_7pk_i4_tES2_fNS_16TensorDescriptorINS_5TupleIJNS_5EmbedINS5_IJNS_17integral_constantIiLi8EEENS7_IiLi256EEENS7_IiLi16EEEEEENS5_IJSA_NS7_IiLi128EEENS7_IiLi1EEEEEELb0EEENS_3XorINS5_IJS9_S8_EEELb1EEENS_11PassThroughISA_EENS_7UnMergeINS5_IJS8_SD_EEELb0EEENSJ_IS9_EESK_NSJ_IS8_EENS_21Merge_v3_division_modINS5_IJS9_SD_EEEEESK_EEENS5_IJNS_8SequenceIJLi0EEEENSU_IJLi2ELi1EEEENSU_IJLi3EEEENSU_IJLi5EEEENSU_IJLi4EEEENSU_IJLi6EEEENSU_IJLi7EEEENSU_IJLi9ELi8EEEENSU_IJLi10EEEEEEENS5_IJNSU_IJLi1ELi2ELi3EEEENSU_IJLi4ELi5EEEES10_NSU_IJLi7ELi8EEEENSU_IJLi9EEEES13_NSU_IJLi11EEEENSU_IJLi12EEEENSU_IJLi13EEEEEEENSU_IJLi11ELi12ELi13EEEENS7_IlLl32768EEEEENS4_INS5_IJNSL_INS5_IJS8_SD_SD_NS7_IiLi32EEEEEELb0EEEEEENS5_IJSV_EEENS5_IJNSU_IJLi1ELi2ELi3ELi4EEEEEEES1L_NS7_IlLl256EEEEENS4_INS5_IJSF_SI_SK_SN_SO_SK_SP_SS_SK_NSQ_INS5_IJS8_SA_EEEEENSL_INS5_IJS8_NS7_IiLi2EEESA_EEELb0EEEEEENS5_IJSV_SW_SX_SY_SZ_S10_S11_S12_S13_NSU_IJLi11ELi13EEEES1A_EEENS5_IJS15_S16_S10_S17_S18_S13_S19_S1A_S1B_NSU_IJLi14EEEENSU_IJLi15ELi16ELi17EEEEEEENSU_IJLi15ELi16ELi17ELi14EEEES1E_EENS4_INS5_IJS1I_NSQ_ISM_EES1T_EEENS5_IJSV_NSU_IJLi1ELi3EEEENSU_IJLi2EEEEEEENS5_IJS1L_SY_NSU_IJLi6ELi7ELi8EEEEEEENSU_IJLi6ELi7ELi8ELi5EEEES1N_EELi16ELi32ELi256ELi256ELi128ELi16ELi16ELi8ELi8ELi32ELb0EE3RunILb1ELNS_10TailNumberE0ENS4_INS5_IJNS6_INS5_IJiiEEENS5_IJiSD_EEELb0EEENSL_IS2E_Lb0EEENSJ_IiEEEEENS5_IJSV_S25_NSU_IJLi1EEEEEEENS5_IJNSU_IJLi1ELi2EEEENSU_IJLi3ELi4EEEESY_EEENSU_IJLi3ELi5ELi4EEEElEES1F_NS_35ThreadGroupTensorSliceTransfer_v4r1INS_15ThisThreadBlockILi256EEENS_16tensor_operation12element_wise11PassThroughES2W_LNS_25InMemoryDataOperationEnumE0ENSU_IJLi8ELi256ELi16EEEENSU_IJLi8ELi32ELi1EEEENSU_IJLi1ELi0ELi2EEEES2_S2_RKS2Q_KS1F_S30_NSU_IJLi0ELi1ELi2EEEELi2ELi2ELi16ELi16ELi1ELi1ELb0ELb1ELi2EiEENS_13DynamicBufferILNS_16AddressSpaceEnumE1EKS2_lLb1ELNS_22AmdBufferCoherenceEnumE0EiEENS5_IJNS36_ILS37_2ES2_S1E_Lb1ELS39_0EiEES3B_EEENS5_IJiiiEEENS4_INS5_IJNS6_INS5_IJiiiiEEENS5_IJiiiSD_EEELb0EEEEEES1K_S1M_S1L_lEENS_32ThreadwiseTensorSliceTransfer_v2IS3_S3_RKS3I_KS1O_NSU_IJLi8ELi1ELi1ELi32EEEENSU_IJLi1ELi2ELi0ELi3EEEELi3ELi32ELi0ELb1ELb0ELb0EEENS36_ILS37_1EKS3_lLb1ELS39_0EiEENS5_IJNS_12StaticBufferILS37_4ES3_Li256ELb1EEES3T_EEES3E_NS_25StaticBufferTupleOfVectorILS37_4EfLi64ELi4ELb1ELb0EEEEEvRKT1_RKT2_RT3_RKT4_RT5_RKT6_RKT7_RT8_RKT9_RT10_RKT11_RT12_i.has_indirect_call)
	.section	.AMDGPU.csdata,"",@progbits
; Kernel info:
; codeLenInByte = 11216
; TotalNumSgprs: 46
; NumVgprs: 256
; NumAgprs: 50
; TotalNumVgprs: 306
; ScratchSize: 3312
; MemoryBound: 0
; FloatMode: 240
; IeeeMode: 1
; LDSByteSize: 65536 bytes/workgroup (compile time only)
; SGPRBlocks: 12
; VGPRBlocks: 38
; NumSGPRsForWavesPerEU: 102
; NumVGPRsForWavesPerEU: 306
; AccumOffset: 256
; Occupancy: 1
; WaveLimiterHint : 1
; COMPUTE_PGM_RSRC2:SCRATCH_EN: 1
; COMPUTE_PGM_RSRC2:USER_SGPR: 2
; COMPUTE_PGM_RSRC2:TRAP_HANDLER: 0
; COMPUTE_PGM_RSRC2:TGID_X_EN: 1
; COMPUTE_PGM_RSRC2:TGID_Y_EN: 0
; COMPUTE_PGM_RSRC2:TGID_Z_EN: 1
; COMPUTE_PGM_RSRC2:TIDIG_COMP_CNT: 0
; COMPUTE_PGM_RSRC3_GFX90A:ACCUM_OFFSET: 63
; COMPUTE_PGM_RSRC3_GFX90A:TG_SPLIT: 0
	.text
	.p2align	2                               ; -- Begin function _ZNK2ck52BlockwiseGemmXdlops_pipeline_bpreshuffle_bdequant_v3ILNS_26BlockGemmPipelineSchedulerE0ELi256ENS_9f8_fnuz_tENS_7pk_i4_tES2_fNS_16TensorDescriptorINS_5TupleIJNS_5EmbedINS5_IJNS_17integral_constantIiLi8EEENS7_IiLi256EEENS7_IiLi16EEEEEENS5_IJSA_NS7_IiLi128EEENS7_IiLi1EEEEEELb0EEENS_3XorINS5_IJS9_S8_EEELb1EEENS_11PassThroughISA_EENS_7UnMergeINS5_IJS8_SD_EEELb0EEENSJ_IS9_EESK_NSJ_IS8_EENS_21Merge_v3_division_modINS5_IJS9_SD_EEEEESK_EEENS5_IJNS_8SequenceIJLi0EEEENSU_IJLi2ELi1EEEENSU_IJLi3EEEENSU_IJLi5EEEENSU_IJLi4EEEENSU_IJLi6EEEENSU_IJLi7EEEENSU_IJLi9ELi8EEEENSU_IJLi10EEEEEEENS5_IJNSU_IJLi1ELi2ELi3EEEENSU_IJLi4ELi5EEEES10_NSU_IJLi7ELi8EEEENSU_IJLi9EEEES13_NSU_IJLi11EEEENSU_IJLi12EEEENSU_IJLi13EEEEEEENSU_IJLi11ELi12ELi13EEEENS7_IlLl32768EEEEENS4_INS5_IJNSL_INS5_IJS8_SD_SD_NS7_IiLi32EEEEEELb0EEEEEENS5_IJSV_EEENS5_IJNSU_IJLi1ELi2ELi3ELi4EEEEEEES1L_NS7_IlLl256EEEEENS4_INS5_IJSF_SI_SK_SN_SO_SK_SP_SS_SK_NSQ_INS5_IJS8_SA_EEEEENSL_INS5_IJS8_NS7_IiLi2EEESA_EEELb0EEEEEENS5_IJSV_SW_SX_SY_SZ_S10_S11_S12_S13_NSU_IJLi11ELi13EEEES1A_EEENS5_IJS15_S16_S10_S17_S18_S13_S19_S1A_S1B_NSU_IJLi14EEEENSU_IJLi15ELi16ELi17EEEEEEENSU_IJLi15ELi16ELi17ELi14EEEES1E_EENS4_INS5_IJS1I_NSQ_ISM_EES1T_EEENS5_IJSV_NSU_IJLi1ELi3EEEENSU_IJLi2EEEEEEENS5_IJS1L_SY_NSU_IJLi6ELi7ELi8EEEEEEENSU_IJLi6ELi7ELi8ELi5EEEES1N_EELi16ELi32ELi256ELi256ELi128ELi16ELi16ELi8ELi8ELi32ELb0EE3RunILb1ELNS_10TailNumberE1ENS4_INS5_IJNS6_INS5_IJiiEEENS5_IJiSD_EEELb0EEENSL_IS2E_Lb0EEENSJ_IiEEEEENS5_IJSV_S25_NSU_IJLi1EEEEEEENS5_IJNSU_IJLi1ELi2EEEENSU_IJLi3ELi4EEEESY_EEENSU_IJLi3ELi5ELi4EEEElEES1F_NS_35ThreadGroupTensorSliceTransfer_v4r1INS_15ThisThreadBlockILi256EEENS_16tensor_operation12element_wise11PassThroughES2W_LNS_25InMemoryDataOperationEnumE0ENSU_IJLi8ELi256ELi16EEEENSU_IJLi8ELi32ELi1EEEENSU_IJLi1ELi0ELi2EEEES2_S2_RKS2Q_KS1F_S30_NSU_IJLi0ELi1ELi2EEEELi2ELi2ELi16ELi16ELi1ELi1ELb0ELb1ELi2EiEENS_13DynamicBufferILNS_16AddressSpaceEnumE1EKS2_lLb1ELNS_22AmdBufferCoherenceEnumE0EiEENS5_IJNS36_ILS37_2ES2_S1E_Lb1ELS39_0EiEES3B_EEENS5_IJiiiEEENS4_INS5_IJNS6_INS5_IJiiiiEEENS5_IJiiiSD_EEELb0EEEEEES1K_S1M_S1L_lEENS_32ThreadwiseTensorSliceTransfer_v2IS3_S3_RKS3I_KS1O_NSU_IJLi8ELi1ELi1ELi32EEEENSU_IJLi1ELi2ELi0ELi3EEEELi3ELi32ELi0ELb1ELb0ELb0EEENS36_ILS37_1EKS3_lLb1ELS39_0EiEENS5_IJNS_12StaticBufferILS37_4ES3_Li256ELb1EEES3T_EEES3E_NS_25StaticBufferTupleOfVectorILS37_4EfLi64ELi4ELb1ELb0EEEEEvRKT1_RKT2_RT3_RKT4_RT5_RKT6_RKT7_RT8_RKT9_RT10_RKT11_RT12_i
	.type	_ZNK2ck52BlockwiseGemmXdlops_pipeline_bpreshuffle_bdequant_v3ILNS_26BlockGemmPipelineSchedulerE0ELi256ENS_9f8_fnuz_tENS_7pk_i4_tES2_fNS_16TensorDescriptorINS_5TupleIJNS_5EmbedINS5_IJNS_17integral_constantIiLi8EEENS7_IiLi256EEENS7_IiLi16EEEEEENS5_IJSA_NS7_IiLi128EEENS7_IiLi1EEEEEELb0EEENS_3XorINS5_IJS9_S8_EEELb1EEENS_11PassThroughISA_EENS_7UnMergeINS5_IJS8_SD_EEELb0EEENSJ_IS9_EESK_NSJ_IS8_EENS_21Merge_v3_division_modINS5_IJS9_SD_EEEEESK_EEENS5_IJNS_8SequenceIJLi0EEEENSU_IJLi2ELi1EEEENSU_IJLi3EEEENSU_IJLi5EEEENSU_IJLi4EEEENSU_IJLi6EEEENSU_IJLi7EEEENSU_IJLi9ELi8EEEENSU_IJLi10EEEEEEENS5_IJNSU_IJLi1ELi2ELi3EEEENSU_IJLi4ELi5EEEES10_NSU_IJLi7ELi8EEEENSU_IJLi9EEEES13_NSU_IJLi11EEEENSU_IJLi12EEEENSU_IJLi13EEEEEEENSU_IJLi11ELi12ELi13EEEENS7_IlLl32768EEEEENS4_INS5_IJNSL_INS5_IJS8_SD_SD_NS7_IiLi32EEEEEELb0EEEEEENS5_IJSV_EEENS5_IJNSU_IJLi1ELi2ELi3ELi4EEEEEEES1L_NS7_IlLl256EEEEENS4_INS5_IJSF_SI_SK_SN_SO_SK_SP_SS_SK_NSQ_INS5_IJS8_SA_EEEEENSL_INS5_IJS8_NS7_IiLi2EEESA_EEELb0EEEEEENS5_IJSV_SW_SX_SY_SZ_S10_S11_S12_S13_NSU_IJLi11ELi13EEEES1A_EEENS5_IJS15_S16_S10_S17_S18_S13_S19_S1A_S1B_NSU_IJLi14EEEENSU_IJLi15ELi16ELi17EEEEEEENSU_IJLi15ELi16ELi17ELi14EEEES1E_EENS4_INS5_IJS1I_NSQ_ISM_EES1T_EEENS5_IJSV_NSU_IJLi1ELi3EEEENSU_IJLi2EEEEEEENS5_IJS1L_SY_NSU_IJLi6ELi7ELi8EEEEEEENSU_IJLi6ELi7ELi8ELi5EEEES1N_EELi16ELi32ELi256ELi256ELi128ELi16ELi16ELi8ELi8ELi32ELb0EE3RunILb1ELNS_10TailNumberE1ENS4_INS5_IJNS6_INS5_IJiiEEENS5_IJiSD_EEELb0EEENSL_IS2E_Lb0EEENSJ_IiEEEEENS5_IJSV_S25_NSU_IJLi1EEEEEEENS5_IJNSU_IJLi1ELi2EEEENSU_IJLi3ELi4EEEESY_EEENSU_IJLi3ELi5ELi4EEEElEES1F_NS_35ThreadGroupTensorSliceTransfer_v4r1INS_15ThisThreadBlockILi256EEENS_16tensor_operation12element_wise11PassThroughES2W_LNS_25InMemoryDataOperationEnumE0ENSU_IJLi8ELi256ELi16EEEENSU_IJLi8ELi32ELi1EEEENSU_IJLi1ELi0ELi2EEEES2_S2_RKS2Q_KS1F_S30_NSU_IJLi0ELi1ELi2EEEELi2ELi2ELi16ELi16ELi1ELi1ELb0ELb1ELi2EiEENS_13DynamicBufferILNS_16AddressSpaceEnumE1EKS2_lLb1ELNS_22AmdBufferCoherenceEnumE0EiEENS5_IJNS36_ILS37_2ES2_S1E_Lb1ELS39_0EiEES3B_EEENS5_IJiiiEEENS4_INS5_IJNS6_INS5_IJiiiiEEENS5_IJiiiSD_EEELb0EEEEEES1K_S1M_S1L_lEENS_32ThreadwiseTensorSliceTransfer_v2IS3_S3_RKS3I_KS1O_NSU_IJLi8ELi1ELi1ELi32EEEENSU_IJLi1ELi2ELi0ELi3EEEELi3ELi32ELi0ELb1ELb0ELb0EEENS36_ILS37_1EKS3_lLb1ELS39_0EiEENS5_IJNS_12StaticBufferILS37_4ES3_Li256ELb1EEES3T_EEES3E_NS_25StaticBufferTupleOfVectorILS37_4EfLi64ELi4ELb1ELb0EEEEEvRKT1_RKT2_RT3_RKT4_RT5_RKT6_RKT7_RT8_RKT9_RT10_RKT11_RT12_i,@function
_ZNK2ck52BlockwiseGemmXdlops_pipeline_bpreshuffle_bdequant_v3ILNS_26BlockGemmPipelineSchedulerE0ELi256ENS_9f8_fnuz_tENS_7pk_i4_tES2_fNS_16TensorDescriptorINS_5TupleIJNS_5EmbedINS5_IJNS_17integral_constantIiLi8EEENS7_IiLi256EEENS7_IiLi16EEEEEENS5_IJSA_NS7_IiLi128EEENS7_IiLi1EEEEEELb0EEENS_3XorINS5_IJS9_S8_EEELb1EEENS_11PassThroughISA_EENS_7UnMergeINS5_IJS8_SD_EEELb0EEENSJ_IS9_EESK_NSJ_IS8_EENS_21Merge_v3_division_modINS5_IJS9_SD_EEEEESK_EEENS5_IJNS_8SequenceIJLi0EEEENSU_IJLi2ELi1EEEENSU_IJLi3EEEENSU_IJLi5EEEENSU_IJLi4EEEENSU_IJLi6EEEENSU_IJLi7EEEENSU_IJLi9ELi8EEEENSU_IJLi10EEEEEEENS5_IJNSU_IJLi1ELi2ELi3EEEENSU_IJLi4ELi5EEEES10_NSU_IJLi7ELi8EEEENSU_IJLi9EEEES13_NSU_IJLi11EEEENSU_IJLi12EEEENSU_IJLi13EEEEEEENSU_IJLi11ELi12ELi13EEEENS7_IlLl32768EEEEENS4_INS5_IJNSL_INS5_IJS8_SD_SD_NS7_IiLi32EEEEEELb0EEEEEENS5_IJSV_EEENS5_IJNSU_IJLi1ELi2ELi3ELi4EEEEEEES1L_NS7_IlLl256EEEEENS4_INS5_IJSF_SI_SK_SN_SO_SK_SP_SS_SK_NSQ_INS5_IJS8_SA_EEEEENSL_INS5_IJS8_NS7_IiLi2EEESA_EEELb0EEEEEENS5_IJSV_SW_SX_SY_SZ_S10_S11_S12_S13_NSU_IJLi11ELi13EEEES1A_EEENS5_IJS15_S16_S10_S17_S18_S13_S19_S1A_S1B_NSU_IJLi14EEEENSU_IJLi15ELi16ELi17EEEEEEENSU_IJLi15ELi16ELi17ELi14EEEES1E_EENS4_INS5_IJS1I_NSQ_ISM_EES1T_EEENS5_IJSV_NSU_IJLi1ELi3EEEENSU_IJLi2EEEEEEENS5_IJS1L_SY_NSU_IJLi6ELi7ELi8EEEEEEENSU_IJLi6ELi7ELi8ELi5EEEES1N_EELi16ELi32ELi256ELi256ELi128ELi16ELi16ELi8ELi8ELi32ELb0EE3RunILb1ELNS_10TailNumberE1ENS4_INS5_IJNS6_INS5_IJiiEEENS5_IJiSD_EEELb0EEENSL_IS2E_Lb0EEENSJ_IiEEEEENS5_IJSV_S25_NSU_IJLi1EEEEEEENS5_IJNSU_IJLi1ELi2EEEENSU_IJLi3ELi4EEEESY_EEENSU_IJLi3ELi5ELi4EEEElEES1F_NS_35ThreadGroupTensorSliceTransfer_v4r1INS_15ThisThreadBlockILi256EEENS_16tensor_operation12element_wise11PassThroughES2W_LNS_25InMemoryDataOperationEnumE0ENSU_IJLi8ELi256ELi16EEEENSU_IJLi8ELi32ELi1EEEENSU_IJLi1ELi0ELi2EEEES2_S2_RKS2Q_KS1F_S30_NSU_IJLi0ELi1ELi2EEEELi2ELi2ELi16ELi16ELi1ELi1ELb0ELb1ELi2EiEENS_13DynamicBufferILNS_16AddressSpaceEnumE1EKS2_lLb1ELNS_22AmdBufferCoherenceEnumE0EiEENS5_IJNS36_ILS37_2ES2_S1E_Lb1ELS39_0EiEES3B_EEENS5_IJiiiEEENS4_INS5_IJNS6_INS5_IJiiiiEEENS5_IJiiiSD_EEELb0EEEEEES1K_S1M_S1L_lEENS_32ThreadwiseTensorSliceTransfer_v2IS3_S3_RKS3I_KS1O_NSU_IJLi8ELi1ELi1ELi32EEEENSU_IJLi1ELi2ELi0ELi3EEEELi3ELi32ELi0ELb1ELb0ELb0EEENS36_ILS37_1EKS3_lLb1ELS39_0EiEENS5_IJNS_12StaticBufferILS37_4ES3_Li256ELb1EEES3T_EEES3E_NS_25StaticBufferTupleOfVectorILS37_4EfLi64ELi4ELb1ELb0EEEEEvRKT1_RKT2_RT3_RKT4_RT5_RKT6_RKT7_RT8_RKT9_RT10_RKT11_RT12_i: ; @_ZNK2ck52BlockwiseGemmXdlops_pipeline_bpreshuffle_bdequant_v3ILNS_26BlockGemmPipelineSchedulerE0ELi256ENS_9f8_fnuz_tENS_7pk_i4_tES2_fNS_16TensorDescriptorINS_5TupleIJNS_5EmbedINS5_IJNS_17integral_constantIiLi8EEENS7_IiLi256EEENS7_IiLi16EEEEEENS5_IJSA_NS7_IiLi128EEENS7_IiLi1EEEEEELb0EEENS_3XorINS5_IJS9_S8_EEELb1EEENS_11PassThroughISA_EENS_7UnMergeINS5_IJS8_SD_EEELb0EEENSJ_IS9_EESK_NSJ_IS8_EENS_21Merge_v3_division_modINS5_IJS9_SD_EEEEESK_EEENS5_IJNS_8SequenceIJLi0EEEENSU_IJLi2ELi1EEEENSU_IJLi3EEEENSU_IJLi5EEEENSU_IJLi4EEEENSU_IJLi6EEEENSU_IJLi7EEEENSU_IJLi9ELi8EEEENSU_IJLi10EEEEEEENS5_IJNSU_IJLi1ELi2ELi3EEEENSU_IJLi4ELi5EEEES10_NSU_IJLi7ELi8EEEENSU_IJLi9EEEES13_NSU_IJLi11EEEENSU_IJLi12EEEENSU_IJLi13EEEEEEENSU_IJLi11ELi12ELi13EEEENS7_IlLl32768EEEEENS4_INS5_IJNSL_INS5_IJS8_SD_SD_NS7_IiLi32EEEEEELb0EEEEEENS5_IJSV_EEENS5_IJNSU_IJLi1ELi2ELi3ELi4EEEEEEES1L_NS7_IlLl256EEEEENS4_INS5_IJSF_SI_SK_SN_SO_SK_SP_SS_SK_NSQ_INS5_IJS8_SA_EEEEENSL_INS5_IJS8_NS7_IiLi2EEESA_EEELb0EEEEEENS5_IJSV_SW_SX_SY_SZ_S10_S11_S12_S13_NSU_IJLi11ELi13EEEES1A_EEENS5_IJS15_S16_S10_S17_S18_S13_S19_S1A_S1B_NSU_IJLi14EEEENSU_IJLi15ELi16ELi17EEEEEEENSU_IJLi15ELi16ELi17ELi14EEEES1E_EENS4_INS5_IJS1I_NSQ_ISM_EES1T_EEENS5_IJSV_NSU_IJLi1ELi3EEEENSU_IJLi2EEEEEEENS5_IJS1L_SY_NSU_IJLi6ELi7ELi8EEEEEEENSU_IJLi6ELi7ELi8ELi5EEEES1N_EELi16ELi32ELi256ELi256ELi128ELi16ELi16ELi8ELi8ELi32ELb0EE3RunILb1ELNS_10TailNumberE1ENS4_INS5_IJNS6_INS5_IJiiEEENS5_IJiSD_EEELb0EEENSL_IS2E_Lb0EEENSJ_IiEEEEENS5_IJSV_S25_NSU_IJLi1EEEEEEENS5_IJNSU_IJLi1ELi2EEEENSU_IJLi3ELi4EEEESY_EEENSU_IJLi3ELi5ELi4EEEElEES1F_NS_35ThreadGroupTensorSliceTransfer_v4r1INS_15ThisThreadBlockILi256EEENS_16tensor_operation12element_wise11PassThroughES2W_LNS_25InMemoryDataOperationEnumE0ENSU_IJLi8ELi256ELi16EEEENSU_IJLi8ELi32ELi1EEEENSU_IJLi1ELi0ELi2EEEES2_S2_RKS2Q_KS1F_S30_NSU_IJLi0ELi1ELi2EEEELi2ELi2ELi16ELi16ELi1ELi1ELb0ELb1ELi2EiEENS_13DynamicBufferILNS_16AddressSpaceEnumE1EKS2_lLb1ELNS_22AmdBufferCoherenceEnumE0EiEENS5_IJNS36_ILS37_2ES2_S1E_Lb1ELS39_0EiEES3B_EEENS5_IJiiiEEENS4_INS5_IJNS6_INS5_IJiiiiEEENS5_IJiiiSD_EEELb0EEEEEES1K_S1M_S1L_lEENS_32ThreadwiseTensorSliceTransfer_v2IS3_S3_RKS3I_KS1O_NSU_IJLi8ELi1ELi1ELi32EEEENSU_IJLi1ELi2ELi0ELi3EEEELi3ELi32ELi0ELb1ELb0ELb0EEENS36_ILS37_1EKS3_lLb1ELS39_0EiEENS5_IJNS_12StaticBufferILS37_4ES3_Li256ELb1EEES3T_EEES3E_NS_25StaticBufferTupleOfVectorILS37_4EfLi64ELi4ELb1ELb0EEEEEvRKT1_RKT2_RT3_RKT4_RT5_RKT6_RKT7_RT8_RKT9_RT10_RKT11_RT12_i
; %bb.0:
	s_waitcnt vmcnt(0) expcnt(0) lgkmcnt(0)
	v_accvgpr_write_b32 a43, v19
	v_accvgpr_write_b32 a45, v11
	v_accvgpr_write_b32 a42, v18
	v_accvgpr_write_b32 a44, v10
	; sched_barrier mask(0x00000000)
	flat_load_dwordx3 v[28:30], v[14:15]
	flat_load_dwordx4 v[24:27], v[16:17]
	v_accvgpr_write_b32 a41, v17
	v_accvgpr_write_b32 a40, v16
	v_mov_b32_e32 v11, 0
	s_mov_b64 s[2:3], exec
	s_waitcnt vmcnt(0) lgkmcnt(0)
	v_lshrrev_b32_e32 v16, 31, v28
	v_lshrrev_b32_e32 v10, 31, v27
	v_add_u32_e32 v18, v28, v16
	v_lshl_add_u64 v[16:17], v[26:27], 0, v[10:11]
	v_and_b32_e32 v25, 0xffff, v25
	v_mov_b32_e32 v27, 0x20000
	v_ashrrev_i32_e32 v10, 1, v18
	v_alignbit_b32 v26, v17, v16, 1
.LBB3_1:                                ; =>This Inner Loop Header: Depth=1
	v_readfirstlane_b32 s4, v24
	v_readfirstlane_b32 s5, v25
	;; [unrolled: 1-line block ×4, first 2 shown]
	v_cmp_eq_u64_e32 vcc, s[4:5], v[24:25]
	s_nop 0
	v_cmp_eq_u64_e64 s[0:1], s[6:7], v[26:27]
	s_and_b64 s[0:1], vcc, s[0:1]
	s_and_saveexec_b64 s[0:1], s[0:1]
	buffer_load_dwordx4 v[196:199], v10, s[4:7], 0 offen
                                        ; implicit-def: $vgpr10
	s_xor_b64 exec, exec, s[0:1]
	s_cbranch_execnz .LBB3_1
; %bb.2:
	s_mov_b64 exec, s[2:3]
	v_add_u32_e32 v10, 1, v29
	flat_store_dword v[14:15], v10 offset:4
	flat_load_dword v10, v[12:13] offset:16
	s_mov_b64 s[2:3], exec
	s_waitcnt vmcnt(0) lgkmcnt(0)
	v_add_u32_e32 v10, v10, v28
	v_lshrrev_b32_e32 v11, 31, v10
	v_add_u32_e32 v11, v10, v11
	v_ashrrev_i32_e32 v11, 1, v11
	flat_store_dword v[14:15], v10
.LBB3_3:                                ; =>This Inner Loop Header: Depth=1
	v_readfirstlane_b32 s4, v24
	v_readfirstlane_b32 s5, v25
	v_readfirstlane_b32 s6, v26
	v_readfirstlane_b32 s7, v27
	v_cmp_eq_u64_e32 vcc, s[4:5], v[24:25]
	s_nop 0
	v_cmp_eq_u64_e64 s[0:1], s[6:7], v[26:27]
	s_and_b64 s[0:1], vcc, s[0:1]
	s_and_saveexec_b64 s[0:1], s[0:1]
	buffer_load_dwordx4 v[192:195], v11, s[4:7], 0 offen
                                        ; implicit-def: $vgpr11
	s_xor_b64 exec, exec, s[0:1]
	s_cbranch_execnz .LBB3_3
; %bb.4:
	s_mov_b64 exec, s[2:3]
	v_add_u32_e32 v11, 2, v29
	flat_store_dword v[14:15], v11 offset:4
	flat_load_dword v11, v[12:13] offset:16
	s_mov_b64 s[2:3], exec
	s_waitcnt vmcnt(0) lgkmcnt(0)
	v_add_u32_e32 v10, v11, v10
	v_lshrrev_b32_e32 v11, 31, v10
	v_add_u32_e32 v11, v10, v11
	v_ashrrev_i32_e32 v11, 1, v11
	flat_store_dword v[14:15], v10
.LBB3_5:                                ; =>This Inner Loop Header: Depth=1
	v_readfirstlane_b32 s4, v24
	v_readfirstlane_b32 s5, v25
	v_readfirstlane_b32 s6, v26
	v_readfirstlane_b32 s7, v27
	v_cmp_eq_u64_e32 vcc, s[4:5], v[24:25]
	s_nop 0
	v_cmp_eq_u64_e64 s[0:1], s[6:7], v[26:27]
	s_and_b64 s[0:1], vcc, s[0:1]
	s_and_saveexec_b64 s[0:1], s[0:1]
	buffer_load_dwordx4 v[180:183], v11, s[4:7], 0 offen
                                        ; implicit-def: $vgpr11
	s_xor_b64 exec, exec, s[0:1]
	s_cbranch_execnz .LBB3_5
	;; [unrolled: 26-line block ×4, first 2 shown]
; %bb.10:
	s_mov_b64 exec, s[2:3]
	v_add_u32_e32 v11, 5, v29
	flat_store_dword v[14:15], v11 offset:4
	flat_load_dword v11, v[12:13] offset:16
	s_mov_b64 s[2:3], exec
	s_waitcnt vmcnt(0) lgkmcnt(0)
	v_add_u32_e32 v10, v11, v10
	v_lshrrev_b32_e32 v11, 31, v10
	v_add_u32_e32 v11, v10, v11
	v_ashrrev_i32_e32 v11, 1, v11
	flat_store_dword v[14:15], v10
.LBB3_11:                               ; =>This Inner Loop Header: Depth=1
	v_readfirstlane_b32 s4, v24
	v_readfirstlane_b32 s5, v25
	;; [unrolled: 1-line block ×4, first 2 shown]
	v_cmp_eq_u64_e32 vcc, s[4:5], v[24:25]
	s_nop 0
	v_cmp_eq_u64_e64 s[0:1], s[6:7], v[26:27]
	s_and_b64 s[0:1], vcc, s[0:1]
	s_and_saveexec_b64 s[0:1], s[0:1]
	buffer_load_dwordx4 v[144:147], v11, s[4:7], 0 offen
                                        ; implicit-def: $vgpr11
	s_xor_b64 exec, exec, s[0:1]
	s_cbranch_execnz .LBB3_11
; %bb.12:
	s_mov_b64 exec, s[2:3]
	v_add_u32_e32 v11, 6, v29
	flat_store_dword v[14:15], v11 offset:4
	flat_load_dword v11, v[12:13] offset:16
	s_mov_b64 s[2:3], exec
	s_waitcnt vmcnt(0) lgkmcnt(0)
	v_add_u32_e32 v10, v11, v10
	v_lshrrev_b32_e32 v11, 31, v10
	v_add_u32_e32 v11, v10, v11
	v_ashrrev_i32_e32 v11, 1, v11
	flat_store_dword v[14:15], v10
.LBB3_13:                               ; =>This Inner Loop Header: Depth=1
	v_readfirstlane_b32 s4, v24
	v_readfirstlane_b32 s5, v25
	;; [unrolled: 1-line block ×4, first 2 shown]
	v_cmp_eq_u64_e32 vcc, s[4:5], v[24:25]
	s_nop 0
	v_cmp_eq_u64_e64 s[0:1], s[6:7], v[26:27]
	s_and_b64 s[0:1], vcc, s[0:1]
	s_and_saveexec_b64 s[0:1], s[0:1]
	buffer_load_dwordx4 v[148:151], v11, s[4:7], 0 offen
                                        ; implicit-def: $vgpr11
	s_xor_b64 exec, exec, s[0:1]
	s_cbranch_execnz .LBB3_13
; %bb.14:
	s_mov_b64 exec, s[2:3]
	v_add_u32_e32 v11, 7, v29
	flat_store_dword v[14:15], v11 offset:4
	flat_load_dword v11, v[12:13] offset:16
	s_mov_b64 s[2:3], exec
	s_waitcnt vmcnt(0) lgkmcnt(0)
	v_add_u32_e32 v28, v11, v10
	v_lshrrev_b32_e32 v10, 31, v28
	v_add_u32_e32 v10, v28, v10
	v_ashrrev_i32_e32 v10, 1, v10
	flat_store_dword v[14:15], v28
.LBB3_15:                               ; =>This Inner Loop Header: Depth=1
	v_readfirstlane_b32 s4, v24
	v_readfirstlane_b32 s5, v25
	;; [unrolled: 1-line block ×4, first 2 shown]
	v_cmp_eq_u64_e32 vcc, s[4:5], v[24:25]
	s_nop 0
	v_cmp_eq_u64_e64 s[0:1], s[6:7], v[26:27]
	s_and_b64 s[0:1], vcc, s[0:1]
	s_and_saveexec_b64 s[0:1], s[0:1]
	buffer_load_dwordx4 v[160:163], v10, s[4:7], 0 offen
                                        ; implicit-def: $vgpr24_vgpr25_vgpr26_vgpr27
                                        ; implicit-def: $vgpr10
	s_xor_b64 exec, exec, s[0:1]
	s_cbranch_execnz .LBB3_15
; %bb.16:
	s_mov_b64 exec, s[2:3]
	flat_store_dword v[14:15], v29 offset:4
	flat_load_dword v10, v[12:13] offset:16
	s_waitcnt vmcnt(0) lgkmcnt(0)
	v_mad_u64_u32 v[32:33], s[0:1], v10, -7, v[28:29]
	v_accvgpr_read_b32 v10, a42
	flat_store_dword v[14:15], v32
	v_accvgpr_read_b32 v11, a43
	flat_load_dwordx4 v[24:27], v[10:11]
	s_nop 0
	flat_load_dwordx2 v[10:11], v[14:15] offset:12
	s_waitcnt vmcnt(0) lgkmcnt(0)
	v_mov_b32_e32 v34, v25
	v_mov_b32_e32 v35, v26
	v_or_b32_e32 v17, v25, v26
	v_add_u32_e32 v16, v29, v24
	v_add_u32_e32 v19, v11, v27
	v_or3_b32 v11, v17, v24, v27
	v_pk_mov_b32 v[28:29], v[34:35], v[34:35] op_sel:[1,0]
	v_cmp_ne_u32_e32 vcc, 0, v11
	v_add_u32_e32 v17, v30, v29
	v_add_u32_e32 v18, v10, v28
	flat_store_dwordx4 v[14:15], v[16:19] offset:4
	s_and_saveexec_b64 s[0:1], vcc
	s_cbranch_execz .LBB3_18
; %bb.17:
	flat_load_dwordx3 v[16:18], v[12:13] offset:16
	s_waitcnt vmcnt(0) lgkmcnt(0)
	v_mul_lo_u32 v10, v16, v24
	v_mul_lo_u32 v11, v18, v35
	v_mul_lo_u32 v16, v17, v34
	v_add3_u32 v10, v32, v27, v10
	v_add3_u32 v10, v10, v16, v11
	flat_store_dword v[14:15], v10
.LBB3_18:
	s_or_b64 exec, exec, s[0:1]
	v_mov_b32_e32 v10, 1
	flat_store_byte v[4:5], v10 offset:288
	flat_load_dwordx4 v[24:27], v[6:7]
	flat_load_dwordx2 v[36:37], v[4:5] offset:704
	s_waitcnt vmcnt(0) lgkmcnt(0)
	v_mov_b32_e32 v27, 0x20000
	s_mov_b64 s[2:3], exec
	v_and_b32_e32 v25, 0xffff, v25
.LBB3_19:                               ; =>This Inner Loop Header: Depth=1
	v_readfirstlane_b32 s4, v24
	v_readfirstlane_b32 s5, v25
	v_readfirstlane_b32 s6, v26
	v_readfirstlane_b32 s7, v27
	v_cmp_eq_u64_e32 vcc, s[4:5], v[24:25]
	s_nop 0
	v_cmp_eq_u64_e64 s[0:1], s[6:7], v[26:27]
	s_and_b64 s[0:1], vcc, s[0:1]
	s_and_saveexec_b64 s[0:1], s[0:1]
	buffer_load_dwordx4 v[28:31], v36, s[4:7], 0 offen
                                        ; implicit-def: $vgpr24_vgpr25_vgpr26_vgpr27
	s_xor_b64 exec, exec, s[0:1]
	s_cbranch_execnz .LBB3_19
; %bb.20:
	s_mov_b64 exec, s[2:3]
	flat_load_dwordx3 v[32:34], v[4:5] offset:716
	v_add_u32_e32 v11, 1, v37
	flat_store_dword v[4:5], v11 offset:708
	s_waitcnt vmcnt(0)
	flat_store_dwordx4 v[4:5], v[28:31]
	flat_store_byte v[4:5], v10 offset:304
	s_mov_b64 s[2:3], exec
	s_waitcnt lgkmcnt(0)
	v_add_u32_e32 v11, 1, v34
	flat_store_dword v[4:5], v11 offset:724
	flat_load_dword v11, v[2:3] offset:8
	s_waitcnt vmcnt(0) lgkmcnt(0)
	v_add_u32_e32 v11, v11, v36
	flat_store_dword v[4:5], v11 offset:704
	flat_load_dwordx4 v[24:27], v[6:7]
	s_waitcnt vmcnt(0) lgkmcnt(0)
	v_mov_b32_e32 v27, 0x20000
	v_and_b32_e32 v25, 0xffff, v25
.LBB3_21:                               ; =>This Inner Loop Header: Depth=1
	v_readfirstlane_b32 s4, v24
	v_readfirstlane_b32 s5, v25
	v_readfirstlane_b32 s6, v26
	v_readfirstlane_b32 s7, v27
	v_cmp_eq_u64_e32 vcc, s[4:5], v[24:25]
	s_nop 0
	v_cmp_eq_u64_e64 s[0:1], s[6:7], v[26:27]
	s_and_b64 s[0:1], vcc, s[0:1]
	s_and_saveexec_b64 s[0:1], s[0:1]
	buffer_load_dwordx4 v[28:31], v11, s[4:7], 0 offen
                                        ; implicit-def: $vgpr24_vgpr25_vgpr26_vgpr27
	s_xor_b64 exec, exec, s[0:1]
	s_cbranch_execnz .LBB3_21
; %bb.22:
	s_mov_b64 exec, s[2:3]
	v_add_u32_e32 v16, 2, v34
	flat_store_dword v[4:5], v16 offset:724
	v_add_u32_e32 v16, 2, v37
	s_waitcnt vmcnt(0)
	flat_store_dwordx4 v[4:5], v[28:31] offset:16
	flat_store_dword v[4:5], v16 offset:708
	flat_load_dword v16, v[2:3] offset:8
	s_mov_b64 s[2:3], exec
	flat_store_byte v[4:5], v10 offset:320
	s_waitcnt vmcnt(0) lgkmcnt(0)
	v_add_u32_e32 v11, v16, v11
	flat_store_dword v[4:5], v11 offset:704
	flat_load_dwordx4 v[24:27], v[6:7]
	s_waitcnt vmcnt(0) lgkmcnt(0)
	v_mov_b32_e32 v27, 0x20000
	v_and_b32_e32 v25, 0xffff, v25
.LBB3_23:                               ; =>This Inner Loop Header: Depth=1
	v_readfirstlane_b32 s4, v24
	v_readfirstlane_b32 s5, v25
	v_readfirstlane_b32 s6, v26
	v_readfirstlane_b32 s7, v27
	v_cmp_eq_u64_e32 vcc, s[4:5], v[24:25]
	s_nop 0
	v_cmp_eq_u64_e64 s[0:1], s[6:7], v[26:27]
	s_and_b64 s[0:1], vcc, s[0:1]
	s_and_saveexec_b64 s[0:1], s[0:1]
	buffer_load_dwordx4 v[28:31], v11, s[4:7], 0 offen
                                        ; implicit-def: $vgpr24_vgpr25_vgpr26_vgpr27
	s_xor_b64 exec, exec, s[0:1]
	s_cbranch_execnz .LBB3_23
; %bb.24:
	s_mov_b64 exec, s[2:3]
	v_add_u32_e32 v16, 3, v34
	flat_store_dword v[4:5], v16 offset:724
	v_add_u32_e32 v16, 3, v37
	s_waitcnt vmcnt(0)
	flat_store_dwordx4 v[4:5], v[28:31] offset:32
	flat_store_dword v[4:5], v16 offset:708
	flat_load_dword v16, v[2:3] offset:8
	s_mov_b64 s[2:3], exec
	flat_store_byte v[4:5], v10 offset:336
	;; [unrolled: 32-line block ×5, first 2 shown]
	s_waitcnt vmcnt(0) lgkmcnt(0)
	v_add_u32_e32 v11, v16, v11
	flat_store_dword v[4:5], v11 offset:704
	flat_load_dwordx4 v[24:27], v[6:7]
	s_waitcnt vmcnt(0) lgkmcnt(0)
	v_mov_b32_e32 v27, 0x20000
	v_and_b32_e32 v25, 0xffff, v25
.LBB3_31:                               ; =>This Inner Loop Header: Depth=1
	v_readfirstlane_b32 s4, v24
	v_readfirstlane_b32 s5, v25
	;; [unrolled: 1-line block ×4, first 2 shown]
	v_cmp_eq_u64_e32 vcc, s[4:5], v[24:25]
	s_nop 0
	v_cmp_eq_u64_e64 s[0:1], s[6:7], v[26:27]
	s_and_b64 s[0:1], vcc, s[0:1]
	s_and_saveexec_b64 s[0:1], s[0:1]
	buffer_load_dwordx4 v[28:31], v11, s[4:7], 0 offen
                                        ; implicit-def: $vgpr24_vgpr25_vgpr26_vgpr27
	s_xor_b64 exec, exec, s[0:1]
	s_cbranch_execnz .LBB3_31
; %bb.32:
	s_mov_b64 exec, s[2:3]
	v_add_u32_e32 v16, 7, v34
	flat_store_dword v[4:5], v16 offset:724
	v_add_u32_e32 v16, 7, v37
	s_waitcnt vmcnt(0)
	flat_store_dwordx4 v[4:5], v[28:31] offset:96
	flat_store_dword v[4:5], v16 offset:708
	flat_load_dword v16, v[2:3] offset:8
	s_mov_b64 s[2:3], exec
	s_waitcnt vmcnt(0) lgkmcnt(0)
	v_add_u32_e32 v11, v16, v11
	flat_store_dword v[4:5], v11 offset:704
	flat_load_dwordx4 v[24:27], v[6:7]
	s_waitcnt vmcnt(0) lgkmcnt(0)
	v_mov_b32_e32 v27, 0x20000
	flat_store_byte v[4:5], v10 offset:400
	v_and_b32_e32 v25, 0xffff, v25
.LBB3_33:                               ; =>This Inner Loop Header: Depth=1
	v_readfirstlane_b32 s4, v24
	v_readfirstlane_b32 s5, v25
	;; [unrolled: 1-line block ×4, first 2 shown]
	v_cmp_eq_u64_e32 vcc, s[4:5], v[24:25]
	s_nop 0
	v_cmp_eq_u64_e64 s[0:1], s[6:7], v[26:27]
	s_and_b64 s[0:1], vcc, s[0:1]
	s_and_saveexec_b64 s[0:1], s[0:1]
	buffer_load_dwordx4 v[28:31], v11, s[4:7], 0 offen
                                        ; implicit-def: $vgpr24_vgpr25_vgpr26_vgpr27
	s_xor_b64 exec, exec, s[0:1]
	s_cbranch_execnz .LBB3_33
; %bb.34:
	s_mov_b64 exec, s[2:3]
	v_accvgpr_read_b32 v16, a44
	s_waitcnt vmcnt(0)
	flat_store_dwordx4 v[4:5], v[28:31] offset:112
	v_accvgpr_read_b32 v17, a45
	flat_load_dwordx3 v[24:26], v[16:17]
	s_waitcnt vmcnt(0) lgkmcnt(0)
	v_add_u32_e32 v10, -7, v25
	v_add_u32_e32 v18, v25, v34
	v_add_u32_e32 v17, v33, v26
	;; [unrolled: 1-line block ×3, first 2 shown]
	v_cmp_ne_u32_e32 vcc, 0, v10
	flat_store_dwordx3 v[4:5], v[16:18] offset:716
	s_and_saveexec_b64 s[0:1], vcc
	s_cbranch_execz .LBB3_36
; %bb.35:
	v_add_u32_e32 v16, v37, v25
	flat_store_dword v[4:5], v16 offset:708
.LBB3_36:
	s_or_b64 exec, exec, s[0:1]
	v_or_b32_e32 v16, v26, v24
	v_mov_b32_e32 v28, 0
	v_cmp_ne_u32_e32 vcc, 0, v16
	s_and_saveexec_b64 s[0:1], vcc
	s_cbranch_execz .LBB3_38
; %bb.37:
	flat_load_dword v17, v[2:3] offset:24
	flat_load_dword v19, v[4:5] offset:712
	v_mov_b32_e32 v18, v26
	s_waitcnt vmcnt(0) lgkmcnt(0)
	v_mad_u64_u32 v[28:29], s[2:3], v17, v24, v[18:19]
	v_add_u32_e32 v17, v28, v19
	flat_store_dword v[4:5], v17 offset:712
.LBB3_38:
	s_or_b64 exec, exec, s[0:1]
	v_or_b32_e32 v16, v16, v10
	v_cmp_ne_u32_e32 vcc, 0, v16
	s_and_saveexec_b64 s[0:1], vcc
	s_cbranch_execz .LBB3_40
; %bb.39:
	flat_load_dword v16, v[2:3] offset:8
	s_waitcnt vmcnt(0) lgkmcnt(0)
	v_mul_lo_u32 v10, v16, v10
	v_add3_u32 v10, v11, v28, v10
	flat_store_dword v[4:5], v10 offset:704
.LBB3_40:
	s_or_b64 exec, exec, s[0:1]
	; sched_barrier mask(0x00000000)
	flat_load_ubyte v11, v[4:5] offset:304
	flat_load_ubyte v23, v[4:5] offset:320
	;; [unrolled: 1-line block ×7, first 2 shown]
	flat_load_dwordx4 v[16:19], v[4:5] offset:16
	flat_load_dwordx4 v[24:27], v[4:5] offset:32
	;; [unrolled: 1-line block ×7, first 2 shown]
	flat_load_dwordx4 v[64:67], v[4:5]
	flat_load_ubyte v81, v[4:5] offset:288
	flat_load_dword v10, v[4:5] offset:728
	s_waitcnt vmcnt(0) lgkmcnt(0)
	v_and_b32_e32 v11, 1, v11
	v_and_b32_e32 v23, 1, v23
	;; [unrolled: 1-line block ×7, first 2 shown]
	v_cmp_eq_u32_e32 vcc, 1, v11
	v_cmp_eq_u32_e64 s[0:1], 1, v23
	v_cmp_eq_u32_e64 s[2:3], 1, v68
	v_cndmask_b32_e32 v19, 0, v19, vcc
	v_cmp_eq_u32_e64 s[4:5], 1, v69
	v_cmp_eq_u32_e64 s[6:7], 1, v70
	;; [unrolled: 1-line block ×4, first 2 shown]
	v_cndmask_b32_e32 v18, 0, v18, vcc
	v_cndmask_b32_e32 v17, 0, v17, vcc
	;; [unrolled: 1-line block ×3, first 2 shown]
	v_cndmask_b32_e64 v27, 0, v27, s[0:1]
	v_cndmask_b32_e64 v31, 0, v31, s[2:3]
	;; [unrolled: 1-line block ×24, first 2 shown]
	flat_store_dwordx4 v[4:5], v[16:19] offset:16
	flat_store_dwordx4 v[4:5], v[24:27] offset:32
	flat_store_dwordx4 v[4:5], v[28:31] offset:48
	flat_store_dwordx4 v[4:5], v[32:35] offset:64
	flat_store_dwordx4 v[4:5], v[36:39] offset:80
	flat_store_dwordx4 v[4:5], v[48:51] offset:96
	flat_store_dwordx4 v[4:5], v[52:55] offset:112
	flat_load_dwordx2 v[68:69], v[4:5] offset:28
	flat_load_dwordx2 v[82:83], v[4:5] offset:44
	;; [unrolled: 1-line block ×5, first 2 shown]
	s_nop 0
	flat_load_dwordx4 v[52:55], v[4:5] offset:108
	flat_load_dword v11, v[4:5] offset:124
	s_mov_b32 s0, 0x3020104
	v_and_b32_e32 v19, 1, v81
	v_perm_b32 v16, v16, v16, s0
	v_cmp_eq_u32_e32 vcc, 1, v19
	flat_store_dwordx3 v[4:5], v[16:18] offset:576
	v_mov_b32_e32 v70, v25
	v_cndmask_b32_e32 v19, 0, v67, vcc
	v_cndmask_b32_e32 v18, 0, v66, vcc
	;; [unrolled: 1-line block ×4, first 2 shown]
	v_mov_b32_e32 v71, v26
	v_mov_b32_e32 v84, v29
	;; [unrolled: 1-line block ×10, first 2 shown]
	s_mov_b64 s[2:3], exec
	flat_store_dwordx4 v[4:5], v[16:19]
	flat_store_dwordx4 v[4:5], v[16:19] offset:560
	s_waitcnt vmcnt(0) lgkmcnt(0)
	flat_store_dwordx4 v[4:5], v[68:71] offset:588
	flat_store_dwordx4 v[4:5], v[82:85] offset:604
	;; [unrolled: 1-line block ×6, first 2 shown]
	flat_store_dword v[4:5], v11 offset:684
	flat_load_dwordx2 v[24:25], v[8:9]
	v_ashrrev_i32_e32 v11, 31, v10
	s_waitcnt vmcnt(0) lgkmcnt(0)
	v_lshl_add_u64 v[10:11], v[24:25], 0, v[10:11]
	flat_store_dwordx4 v[10:11], v[16:19]
	flat_load_dword v10, v[4:5] offset:776
	s_nop 0
	flat_load_dwordx4 v[16:19], v[4:5] offset:748
	s_waitcnt vmcnt(0) lgkmcnt(0)
	flat_load_dword v17, v[4:5] offset:764
	flat_load_dword v18, v[4:5] offset:744
	flat_load_dwordx3 v[30:32], v[4:5] offset:728
	flat_load_dwordx4 v[24:27], v[4:5] offset:576
	v_add_u32_e32 v29, 1, v10
	s_waitcnt vmcnt(0) lgkmcnt(0)
	v_sub_u32_e32 v10, v29, v17
	v_add_u32_e32 v10, v18, v10
	v_sub_u32_e32 v11, v16, v19
	v_ashrrev_i32_e32 v16, 31, v10
	v_lshrrev_b32_e32 v16, 29, v16
	v_add_u32_e32 v16, v10, v16
	v_and_b32_e32 v16, -8, v16
	flat_store_dwordx2 v[4:5], v[10:11] offset:744
	v_sub_u32_e32 v17, v10, v32
	v_mov_b32_e32 v18, v10
	v_sub_u32_e32 v10, v10, v16
	v_lshlrev_b32_e32 v19, 7, v17
	v_xor_b32_e32 v17, v11, v10
	v_sub_u32_e32 v10, v17, v31
	v_lshlrev_b32_e32 v10, 4, v10
	v_add3_u32 v16, v19, v10, v30
	flat_store_dword v[4:5], v29 offset:776
	flat_store_dwordx2 v[4:5], v[28:29] offset:760
	flat_store_dwordx3 v[4:5], v[16:18] offset:728
	flat_load_dwordx2 v[10:11], v[8:9]
	s_nop 0
	v_ashrrev_i32_e32 v17, 31, v16
	s_waitcnt vmcnt(0) lgkmcnt(0)
	v_lshl_add_u64 v[10:11], v[10:11], 0, v[16:17]
	flat_store_dwordx4 v[10:11], v[24:27]
	flat_load_dword v10, v[4:5] offset:776
	s_nop 0
	flat_load_dwordx4 v[16:19], v[4:5] offset:748
	s_waitcnt vmcnt(0) lgkmcnt(0)
	flat_load_dword v17, v[4:5] offset:764
	flat_load_dword v18, v[4:5] offset:744
	flat_load_dwordx3 v[30:32], v[4:5] offset:728
	flat_load_dwordx4 v[24:27], v[4:5] offset:592
	v_add_u32_e32 v29, 1, v10
	s_waitcnt vmcnt(0) lgkmcnt(0)
	v_sub_u32_e32 v10, v29, v17
	v_add_u32_e32 v10, v18, v10
	v_sub_u32_e32 v11, v16, v19
	v_ashrrev_i32_e32 v16, 31, v10
	v_lshrrev_b32_e32 v16, 29, v16
	v_add_u32_e32 v16, v10, v16
	v_and_b32_e32 v16, -8, v16
	flat_store_dwordx2 v[4:5], v[10:11] offset:744
	v_sub_u32_e32 v17, v10, v32
	v_mov_b32_e32 v18, v10
	v_sub_u32_e32 v10, v10, v16
	v_lshlrev_b32_e32 v19, 7, v17
	v_xor_b32_e32 v17, v11, v10
	v_sub_u32_e32 v10, v17, v31
	v_lshlrev_b32_e32 v10, 4, v10
	v_add3_u32 v16, v19, v10, v30
	flat_store_dword v[4:5], v29 offset:776
	flat_store_dwordx2 v[4:5], v[28:29] offset:760
	flat_store_dwordx3 v[4:5], v[16:18] offset:728
	flat_load_dwordx2 v[10:11], v[8:9]
	s_nop 0
	;; [unrolled: 35-line block ×7, first 2 shown]
	v_ashrrev_i32_e32 v17, 31, v16
	s_waitcnt vmcnt(0) lgkmcnt(0)
	v_lshl_add_u64 v[10:11], v[10:11], 0, v[16:17]
	flat_store_dwordx4 v[10:11], v[24:27]
	flat_load_dword v11, v[4:5] offset:776
	s_nop 0
	flat_load_dwordx2 v[16:17], v[4:5] offset:760
	flat_load_dwordx2 v[18:19], v[4:5] offset:744
	;; [unrolled: 1-line block ×3, first 2 shown]
	flat_load_dwordx4 v[24:27], v[4:5] offset:716
	v_mov_b32_e32 v10, 1
	flat_store_byte v[4:5], v10 offset:288
	flat_load_dwordx2 v[36:37], v[4:5] offset:704
	s_waitcnt vmcnt(0) lgkmcnt(0)
	v_add_u32_e32 v29, -7, v11
	v_sub_u32_e32 v11, v29, v17
	v_add_u32_e32 v32, v18, v11
	v_ashrrev_i32_e32 v11, 31, v32
	v_lshrrev_b32_e32 v11, 29, v11
	v_add_u32_e32 v11, v32, v11
	v_and_b32_e32 v11, -8, v11
	v_sub_u32_e32 v33, v19, v16
	v_sub_u32_e32 v11, v32, v11
	v_xor_b32_e32 v17, v33, v11
	v_sub_u32_e32 v16, v32, v31
	v_sub_u32_e32 v11, v17, v30
	v_lshlrev_b32_e32 v16, 7, v16
	v_lshlrev_b32_e32 v11, 4, v11
	v_mov_b32_e32 v18, v32
	v_add3_u32 v16, v16, v11, v27
	flat_store_dword v[4:5], v29 offset:776
	flat_store_dwordx2 v[4:5], v[28:29] offset:760
	flat_store_dwordx2 v[4:5], v[32:33] offset:744
	flat_store_dwordx3 v[4:5], v[16:18] offset:728
	flat_load_dwordx4 v[28:31], v[6:7]
	s_waitcnt vmcnt(0) lgkmcnt(0)
	v_mov_b32_e32 v31, 0x20000
	v_and_b32_e32 v29, 0xffff, v29
.LBB3_41:                               ; =>This Inner Loop Header: Depth=1
	v_readfirstlane_b32 s4, v28
	v_readfirstlane_b32 s5, v29
	;; [unrolled: 1-line block ×4, first 2 shown]
	v_cmp_eq_u64_e32 vcc, s[4:5], v[28:29]
	s_nop 0
	v_cmp_eq_u64_e64 s[0:1], s[6:7], v[30:31]
	s_and_b64 s[0:1], vcc, s[0:1]
	s_and_saveexec_b64 s[0:1], s[0:1]
	buffer_load_dwordx4 v[32:35], v36, s[4:7], 0 offen
                                        ; implicit-def: $vgpr28_vgpr29_vgpr30_vgpr31
	s_xor_b64 exec, exec, s[0:1]
	s_cbranch_execnz .LBB3_41
; %bb.42:
	s_mov_b64 exec, s[2:3]
	v_add_u32_e32 v11, 1, v26
	flat_store_dword v[4:5], v11 offset:724
	v_add_u32_e32 v11, 1, v37
	s_waitcnt vmcnt(0)
	flat_store_dwordx4 v[4:5], v[32:35]
	flat_store_dword v[4:5], v11 offset:708
	flat_load_dword v11, v[2:3] offset:8
	s_mov_b64 s[2:3], exec
	flat_store_byte v[4:5], v10 offset:304
	s_waitcnt vmcnt(0) lgkmcnt(0)
	v_add_u32_e32 v11, v11, v36
	flat_store_dword v[4:5], v11 offset:704
	flat_load_dwordx4 v[28:31], v[6:7]
	s_waitcnt vmcnt(0) lgkmcnt(0)
	v_mov_b32_e32 v31, 0x20000
	v_and_b32_e32 v29, 0xffff, v29
.LBB3_43:                               ; =>This Inner Loop Header: Depth=1
	v_readfirstlane_b32 s4, v28
	v_readfirstlane_b32 s5, v29
	v_readfirstlane_b32 s6, v30
	v_readfirstlane_b32 s7, v31
	v_cmp_eq_u64_e32 vcc, s[4:5], v[28:29]
	s_nop 0
	v_cmp_eq_u64_e64 s[0:1], s[6:7], v[30:31]
	s_and_b64 s[0:1], vcc, s[0:1]
	s_and_saveexec_b64 s[0:1], s[0:1]
	buffer_load_dwordx4 v[32:35], v11, s[4:7], 0 offen
                                        ; implicit-def: $vgpr28_vgpr29_vgpr30_vgpr31
	s_xor_b64 exec, exec, s[0:1]
	s_cbranch_execnz .LBB3_43
; %bb.44:
	s_mov_b64 exec, s[2:3]
	v_add_u32_e32 v16, 2, v26
	flat_store_dword v[4:5], v16 offset:724
	v_add_u32_e32 v16, 2, v37
	s_waitcnt vmcnt(0)
	flat_store_dwordx4 v[4:5], v[32:35] offset:16
	flat_store_dword v[4:5], v16 offset:708
	flat_load_dword v16, v[2:3] offset:8
	s_mov_b64 s[2:3], exec
	flat_store_byte v[4:5], v10 offset:320
	s_waitcnt vmcnt(0) lgkmcnt(0)
	v_add_u32_e32 v11, v16, v11
	flat_store_dword v[4:5], v11 offset:704
	flat_load_dwordx4 v[28:31], v[6:7]
	s_waitcnt vmcnt(0) lgkmcnt(0)
	v_mov_b32_e32 v31, 0x20000
	v_and_b32_e32 v29, 0xffff, v29
.LBB3_45:                               ; =>This Inner Loop Header: Depth=1
	v_readfirstlane_b32 s4, v28
	v_readfirstlane_b32 s5, v29
	v_readfirstlane_b32 s6, v30
	v_readfirstlane_b32 s7, v31
	v_cmp_eq_u64_e32 vcc, s[4:5], v[28:29]
	s_nop 0
	v_cmp_eq_u64_e64 s[0:1], s[6:7], v[30:31]
	s_and_b64 s[0:1], vcc, s[0:1]
	s_and_saveexec_b64 s[0:1], s[0:1]
	buffer_load_dwordx4 v[32:35], v11, s[4:7], 0 offen
                                        ; implicit-def: $vgpr28_vgpr29_vgpr30_vgpr31
	s_xor_b64 exec, exec, s[0:1]
	s_cbranch_execnz .LBB3_45
; %bb.46:
	s_mov_b64 exec, s[2:3]
	v_add_u32_e32 v16, 3, v26
	flat_store_dword v[4:5], v16 offset:724
	v_add_u32_e32 v16, 3, v37
	s_waitcnt vmcnt(0)
	flat_store_dwordx4 v[4:5], v[32:35] offset:32
	;; [unrolled: 32-line block ×6, first 2 shown]
	flat_store_dword v[4:5], v16 offset:708
	flat_load_dword v16, v[2:3] offset:8
	s_mov_b64 s[2:3], exec
	s_waitcnt vmcnt(0) lgkmcnt(0)
	v_add_u32_e32 v11, v16, v11
	flat_store_dword v[4:5], v11 offset:704
	flat_load_dwordx4 v[28:31], v[6:7]
	s_waitcnt vmcnt(0) lgkmcnt(0)
	v_mov_b32_e32 v31, 0x20000
	flat_store_byte v[4:5], v10 offset:400
	v_and_b32_e32 v29, 0xffff, v29
.LBB3_55:                               ; =>This Inner Loop Header: Depth=1
	v_readfirstlane_b32 s4, v28
	v_readfirstlane_b32 s5, v29
	;; [unrolled: 1-line block ×4, first 2 shown]
	v_cmp_eq_u64_e32 vcc, s[4:5], v[28:29]
	s_nop 0
	v_cmp_eq_u64_e64 s[0:1], s[6:7], v[30:31]
	s_and_b64 s[0:1], vcc, s[0:1]
	s_and_saveexec_b64 s[0:1], s[0:1]
	buffer_load_dwordx4 v[32:35], v11, s[4:7], 0 offen
                                        ; implicit-def: $vgpr28_vgpr29_vgpr30_vgpr31
	s_xor_b64 exec, exec, s[0:1]
	s_cbranch_execnz .LBB3_55
; %bb.56:
	s_mov_b64 exec, s[2:3]
	v_accvgpr_read_b32 v16, a44
	s_waitcnt vmcnt(0)
	flat_store_dwordx4 v[4:5], v[32:35] offset:112
	v_accvgpr_read_b32 v17, a45
	flat_load_dwordx3 v[28:30], v[16:17]
	s_waitcnt vmcnt(0) lgkmcnt(0)
	v_add_u32_e32 v10, -7, v29
	v_add_u32_e32 v18, v29, v26
	v_add_u32_e32 v17, v25, v30
	;; [unrolled: 1-line block ×3, first 2 shown]
	v_cmp_ne_u32_e32 vcc, 0, v10
	flat_store_dwordx3 v[4:5], v[16:18] offset:716
	s_and_saveexec_b64 s[0:1], vcc
	s_cbranch_execz .LBB3_58
; %bb.57:
	v_add_u32_e32 v16, v37, v29
	flat_store_dword v[4:5], v16 offset:708
.LBB3_58:
	s_or_b64 exec, exec, s[0:1]
	v_or_b32_e32 v16, v30, v28
	v_mov_b32_e32 v24, 0
	v_cmp_ne_u32_e32 vcc, 0, v16
	s_and_saveexec_b64 s[0:1], vcc
	s_cbranch_execz .LBB3_60
; %bb.59:
	flat_load_dword v17, v[2:3] offset:24
	flat_load_dword v19, v[4:5] offset:712
	v_mov_b32_e32 v18, v30
	s_waitcnt vmcnt(0) lgkmcnt(0)
	v_mad_u64_u32 v[24:25], s[2:3], v17, v28, v[18:19]
	v_add_u32_e32 v17, v24, v19
	flat_store_dword v[4:5], v17 offset:712
.LBB3_60:
	s_or_b64 exec, exec, s[0:1]
	v_or_b32_e32 v16, v16, v10
	s_mov_b32 s12, 0
	v_cmp_ne_u32_e32 vcc, 0, v16
	s_and_saveexec_b64 s[0:1], vcc
	s_cbranch_execz .LBB3_62
; %bb.61:
	flat_load_dword v16, v[2:3] offset:8
	s_waitcnt vmcnt(0) lgkmcnt(0)
	v_mul_lo_u32 v10, v16, v10
	v_add3_u32 v10, v11, v24, v10
	flat_store_dword v[4:5], v10 offset:704
.LBB3_62:
	s_or_b64 exec, exec, s[0:1]
	s_waitcnt lgkmcnt(0)
	s_barrier
	flat_load_dwordx3 v[28:30], v[0:1] offset:1132
	flat_load_dwordx2 v[32:33], v[8:9]
	flat_load_dword v23, v[0:1] offset:1176
	flat_load_dword v31, v[0:1] offset:1184
	flat_load_dwordx2 v[34:35], v[0:1] offset:1184
	flat_load_dwordx4 v[24:27], v[0:1] offset:1152
	s_waitcnt vmcnt(0) lgkmcnt(0)
	flat_load_dword v25, v[0:1] offset:1148
	v_lshrrev_b32_e32 v26, 24, v147
	v_accvgpr_write_b32 a49, v26
	v_lshrrev_b32_e32 v26, 16, v147
	v_accvgpr_write_b32 a50, v26
	v_lshrrev_b32_e32 v26, 24, v151
	v_accvgpr_write_b32 a47, v26
	v_lshrrev_b32_e32 v26, 16, v151
	v_accvgpr_write_b32 a48, v26
	v_lshrrev_b32_e32 v26, 8, v150
	v_accvgpr_write_b32 a53, v26
	v_lshrrev_b32_e32 v26, 24, v149
	v_accvgpr_write_b32 a51, v26
	v_lshrrev_b32_e32 v26, 16, v149
	v_accvgpr_write_b32 a52, v26
	s_mov_b32 s16, 0x3060104
	s_mov_b32 s14, s12
	;; [unrolled: 1-line block ×3, first 2 shown]
	v_lshrrev_b64 v[106:107], 24, v[198:199]
	v_lshrrev_b64 v[104:105], 24, v[196:197]
	;; [unrolled: 1-line block ×12, first 2 shown]
	s_mov_b32 s13, s12
	v_lshrrev_b32_e32 v190, 24, v199
	v_lshrrev_b32_e32 v200, 16, v199
	;; [unrolled: 1-line block ×43, first 2 shown]
	v_ashrrev_i32_e32 v27, 31, v28
	v_mov_b32_e32 v26, v28
	v_lshl_add_u64 v[26:27], v[32:33], 0, v[26:27]
	v_lshrrev_b32_e32 v234, 16, v166
	v_lshrrev_b32_e32 v237, 8, v166
	v_sub_u32_e32 v23, v24, v23
	v_add_u32_e32 v24, 16, v35
	v_ashrrev_i32_e32 v34, 31, v24
	v_lshrrev_b32_e32 v34, 28, v34
	v_add_u32_e32 v34, v24, v34
	v_lshrrev_b32_e32 v35, 4, v34
	v_and_b32_e32 v34, -16, v34
	v_sub_u32_e32 v24, v24, v34
	s_waitcnt vmcnt(0) lgkmcnt(0)
	v_ashrrev_i32_e32 v34, 31, v25
	v_lshrrev_b32_e32 v34, 29, v34
	v_add_u32_e32 v34, v25, v34
	v_and_b32_e32 v34, 0xffffff8, v34
	v_add_u32_e32 v23, v23, v35
	v_sub_u32_e32 v34, v25, v34
	v_xor_b32_e32 v23, v23, v34
	v_sub_u32_e32 v25, v25, v30
	v_sub_u32_e32 v23, v23, v29
	v_lshl_add_u32 v25, v25, 7, v28
	v_lshlrev_b32_e32 v23, 4, v23
	v_sub_u32_e32 v25, v25, v31
	v_add3_u32 v24, v25, v24, v23
	v_ashrrev_i32_e32 v25, 31, v24
	v_lshl_add_u64 v[24:25], v[32:33], 0, v[24:25]
	flat_load_dwordx4 a[0:3], v[26:27]
	flat_load_dwordx4 a[4:7], v[24:25]
	v_mov_b32_e32 v24, v196
	;;#ASMSTART
	v_cvt_off_f32_i4 v25, v24
v_cvt_off_f32_i4 v26, v24, src0_sel:BYTE_2
v_cvt_pk_fp8_f32 v32, v25, v26
v_cvt_off_f32_i4 v25, v24, src0_sel:BYTE_1
v_cvt_off_f32_i4 v26, v24, src0_sel:BYTE_3
v_cvt_pk_fp8_f32 v33, v25, v26
v_lshrrev_b32 v27, 4, v24
v_cvt_off_f32_i4 v25, v27
v_cvt_off_f32_i4 v26, v27, src0_sel:BYTE_2
v_cvt_pk_fp8_f32 v32, v25, v26, op_sel:[0, 0, 1]
v_cvt_off_f32_i4 v25, v27, src0_sel:BYTE_1
v_cvt_off_f32_i4 v26, v27, src0_sel:BYTE_3
v_cvt_pk_fp8_f32 v33, v25, v26, op_sel:[0, 0, 1]

	;;#ASMEND
	v_perm_b32 v23, v199, v199, s16
	v_mov_b32_e32 v24, v197
	;;#ASMSTART
	v_cvt_off_f32_i4 v25, v24
v_cvt_off_f32_i4 v26, v24, src0_sel:BYTE_2
v_cvt_pk_fp8_f32 v34, v25, v26
v_cvt_off_f32_i4 v25, v24, src0_sel:BYTE_1
v_cvt_off_f32_i4 v26, v24, src0_sel:BYTE_3
v_cvt_pk_fp8_f32 v35, v25, v26
v_lshrrev_b32 v27, 4, v24
v_cvt_off_f32_i4 v25, v27
v_cvt_off_f32_i4 v26, v27, src0_sel:BYTE_2
v_cvt_pk_fp8_f32 v34, v25, v26, op_sel:[0, 0, 1]
v_cvt_off_f32_i4 v25, v27, src0_sel:BYTE_1
v_cvt_off_f32_i4 v26, v27, src0_sel:BYTE_3
v_cvt_pk_fp8_f32 v35, v25, v26, op_sel:[0, 0, 1]

	;;#ASMEND
	v_lshrrev_b32_e32 v232, 24, v165
	v_mov_b32_e32 v24, v198
	;;#ASMSTART
	v_cvt_off_f32_i4 v25, v24
v_cvt_off_f32_i4 v26, v24, src0_sel:BYTE_2
v_cvt_pk_fp8_f32 v36, v25, v26
v_cvt_off_f32_i4 v25, v24, src0_sel:BYTE_1
v_cvt_off_f32_i4 v26, v24, src0_sel:BYTE_3
v_cvt_pk_fp8_f32 v37, v25, v26
v_lshrrev_b32 v27, 4, v24
v_cvt_off_f32_i4 v25, v27
v_cvt_off_f32_i4 v26, v27, src0_sel:BYTE_2
v_cvt_pk_fp8_f32 v36, v25, v26, op_sel:[0, 0, 1]
v_cvt_off_f32_i4 v25, v27, src0_sel:BYTE_1
v_cvt_off_f32_i4 v26, v27, src0_sel:BYTE_3
v_cvt_pk_fp8_f32 v37, v25, v26, op_sel:[0, 0, 1]

	;;#ASMEND
	v_lshrrev_b32_e32 v233, 16, v165
	;;#ASMSTART
	v_cvt_off_f32_i4 v24, v23
v_cvt_off_f32_i4 v25, v23, src0_sel:BYTE_2
v_cvt_pk_fp8_f32 v38, v24, v25
v_cvt_off_f32_i4 v24, v23, src0_sel:BYTE_1
v_cvt_off_f32_i4 v25, v23, src0_sel:BYTE_3
v_cvt_pk_fp8_f32 v39, v24, v25
v_lshrrev_b32 v26, 4, v23
v_cvt_off_f32_i4 v24, v26
v_cvt_off_f32_i4 v25, v26, src0_sel:BYTE_2
v_cvt_pk_fp8_f32 v38, v24, v25, op_sel:[0, 0, 1]
v_cvt_off_f32_i4 v24, v26, src0_sel:BYTE_1
v_cvt_off_f32_i4 v25, v26, src0_sel:BYTE_3
v_cvt_pk_fp8_f32 v39, v24, v25, op_sel:[0, 0, 1]

	;;#ASMEND
	v_lshrrev_b32_e32 v236, 8, v165
	v_mov_b32_e32 v24, v192
	;;#ASMSTART
	v_cvt_off_f32_i4 v25, v24
v_cvt_off_f32_i4 v26, v24, src0_sel:BYTE_2
v_cvt_pk_fp8_f32 v48, v25, v26
v_cvt_off_f32_i4 v25, v24, src0_sel:BYTE_1
v_cvt_off_f32_i4 v26, v24, src0_sel:BYTE_3
v_cvt_pk_fp8_f32 v49, v25, v26
v_lshrrev_b32 v27, 4, v24
v_cvt_off_f32_i4 v25, v27
v_cvt_off_f32_i4 v26, v27, src0_sel:BYTE_2
v_cvt_pk_fp8_f32 v48, v25, v26, op_sel:[0, 0, 1]
v_cvt_off_f32_i4 v25, v27, src0_sel:BYTE_1
v_cvt_off_f32_i4 v26, v27, src0_sel:BYTE_3
v_cvt_pk_fp8_f32 v49, v25, v26, op_sel:[0, 0, 1]

	;;#ASMEND
	v_perm_b32 v23, v195, v195, s16
	v_mov_b32_e32 v24, v193
	;;#ASMSTART
	v_cvt_off_f32_i4 v25, v24
v_cvt_off_f32_i4 v26, v24, src0_sel:BYTE_2
v_cvt_pk_fp8_f32 v50, v25, v26
v_cvt_off_f32_i4 v25, v24, src0_sel:BYTE_1
v_cvt_off_f32_i4 v26, v24, src0_sel:BYTE_3
v_cvt_pk_fp8_f32 v51, v25, v26
v_lshrrev_b32 v27, 4, v24
v_cvt_off_f32_i4 v25, v27
v_cvt_off_f32_i4 v26, v27, src0_sel:BYTE_2
v_cvt_pk_fp8_f32 v50, v25, v26, op_sel:[0, 0, 1]
v_cvt_off_f32_i4 v25, v27, src0_sel:BYTE_1
v_cvt_off_f32_i4 v26, v27, src0_sel:BYTE_3
v_cvt_pk_fp8_f32 v51, v25, v26, op_sel:[0, 0, 1]

	;;#ASMEND
	v_lshrrev_b32_e32 v223, 16, v164
	v_mov_b32_e32 v24, v194
	;;#ASMSTART
	v_cvt_off_f32_i4 v25, v24
v_cvt_off_f32_i4 v26, v24, src0_sel:BYTE_2
v_cvt_pk_fp8_f32 v52, v25, v26
v_cvt_off_f32_i4 v25, v24, src0_sel:BYTE_1
v_cvt_off_f32_i4 v26, v24, src0_sel:BYTE_3
v_cvt_pk_fp8_f32 v53, v25, v26
v_lshrrev_b32 v27, 4, v24
v_cvt_off_f32_i4 v25, v27
v_cvt_off_f32_i4 v26, v27, src0_sel:BYTE_2
v_cvt_pk_fp8_f32 v52, v25, v26, op_sel:[0, 0, 1]
v_cvt_off_f32_i4 v25, v27, src0_sel:BYTE_1
v_cvt_off_f32_i4 v26, v27, src0_sel:BYTE_3
v_cvt_pk_fp8_f32 v53, v25, v26, op_sel:[0, 0, 1]

	;;#ASMEND
	v_lshrrev_b32_e32 v235, 8, v164
	;;#ASMSTART
	v_cvt_off_f32_i4 v24, v23
v_cvt_off_f32_i4 v25, v23, src0_sel:BYTE_2
v_cvt_pk_fp8_f32 v54, v24, v25
v_cvt_off_f32_i4 v24, v23, src0_sel:BYTE_1
v_cvt_off_f32_i4 v25, v23, src0_sel:BYTE_3
v_cvt_pk_fp8_f32 v55, v24, v25
v_lshrrev_b32 v26, 4, v23
v_cvt_off_f32_i4 v24, v26
v_cvt_off_f32_i4 v25, v26, src0_sel:BYTE_2
v_cvt_pk_fp8_f32 v54, v24, v25, op_sel:[0, 0, 1]
v_cvt_off_f32_i4 v24, v26, src0_sel:BYTE_1
v_cvt_off_f32_i4 v25, v26, src0_sel:BYTE_3
v_cvt_pk_fp8_f32 v55, v24, v25, op_sel:[0, 0, 1]

	;;#ASMEND
	v_lshrrev_b32_e32 v107, 8, v147
	v_mov_b32_e32 v24, v180
	;;#ASMSTART
	v_cvt_off_f32_i4 v25, v24
v_cvt_off_f32_i4 v26, v24, src0_sel:BYTE_2
v_cvt_pk_fp8_f32 v64, v25, v26
v_cvt_off_f32_i4 v25, v24, src0_sel:BYTE_1
v_cvt_off_f32_i4 v26, v24, src0_sel:BYTE_3
v_cvt_pk_fp8_f32 v65, v25, v26
v_lshrrev_b32 v27, 4, v24
v_cvt_off_f32_i4 v25, v27
v_cvt_off_f32_i4 v26, v27, src0_sel:BYTE_2
v_cvt_pk_fp8_f32 v64, v25, v26, op_sel:[0, 0, 1]
v_cvt_off_f32_i4 v25, v27, src0_sel:BYTE_1
v_cvt_off_f32_i4 v26, v27, src0_sel:BYTE_3
v_cvt_pk_fp8_f32 v65, v25, v26, op_sel:[0, 0, 1]

	;;#ASMEND
	v_perm_b32 v23, v183, v183, s16
	v_mov_b32_e32 v24, v181
	;;#ASMSTART
	v_cvt_off_f32_i4 v25, v24
v_cvt_off_f32_i4 v26, v24, src0_sel:BYTE_2
v_cvt_pk_fp8_f32 v66, v25, v26
v_cvt_off_f32_i4 v25, v24, src0_sel:BYTE_1
v_cvt_off_f32_i4 v26, v24, src0_sel:BYTE_3
v_cvt_pk_fp8_f32 v67, v25, v26
v_lshrrev_b32 v27, 4, v24
v_cvt_off_f32_i4 v25, v27
v_cvt_off_f32_i4 v26, v27, src0_sel:BYTE_2
v_cvt_pk_fp8_f32 v66, v25, v26, op_sel:[0, 0, 1]
v_cvt_off_f32_i4 v25, v27, src0_sel:BYTE_1
v_cvt_off_f32_i4 v26, v27, src0_sel:BYTE_3
v_cvt_pk_fp8_f32 v67, v25, v26, op_sel:[0, 0, 1]

	;;#ASMEND
	v_lshrrev_b32_e32 v137, 16, v146
	v_mov_b32_e32 v24, v182
	;;#ASMSTART
	v_cvt_off_f32_i4 v25, v24
v_cvt_off_f32_i4 v26, v24, src0_sel:BYTE_2
v_cvt_pk_fp8_f32 v68, v25, v26
v_cvt_off_f32_i4 v25, v24, src0_sel:BYTE_1
v_cvt_off_f32_i4 v26, v24, src0_sel:BYTE_3
v_cvt_pk_fp8_f32 v69, v25, v26
v_lshrrev_b32 v27, 4, v24
v_cvt_off_f32_i4 v25, v27
v_cvt_off_f32_i4 v26, v27, src0_sel:BYTE_2
v_cvt_pk_fp8_f32 v68, v25, v26, op_sel:[0, 0, 1]
v_cvt_off_f32_i4 v25, v27, src0_sel:BYTE_1
v_cvt_off_f32_i4 v26, v27, src0_sel:BYTE_3
v_cvt_pk_fp8_f32 v69, v25, v26, op_sel:[0, 0, 1]

	;;#ASMEND
	v_lshrrev_b32_e32 v123, 8, v146
	;;#ASMSTART
	v_cvt_off_f32_i4 v24, v23
v_cvt_off_f32_i4 v25, v23, src0_sel:BYTE_2
v_cvt_pk_fp8_f32 v70, v24, v25
v_cvt_off_f32_i4 v24, v23, src0_sel:BYTE_1
v_cvt_off_f32_i4 v25, v23, src0_sel:BYTE_3
v_cvt_pk_fp8_f32 v71, v24, v25
v_lshrrev_b32 v26, 4, v23
v_cvt_off_f32_i4 v24, v26
v_cvt_off_f32_i4 v25, v26, src0_sel:BYTE_2
v_cvt_pk_fp8_f32 v70, v24, v25, op_sel:[0, 0, 1]
v_cvt_off_f32_i4 v24, v26, src0_sel:BYTE_1
v_cvt_off_f32_i4 v25, v26, src0_sel:BYTE_3
v_cvt_pk_fp8_f32 v71, v24, v25, op_sel:[0, 0, 1]

	;;#ASMEND
	v_lshrrev_b32_e32 v109, 24, v145
	v_mov_b32_e32 v24, v176
	;;#ASMSTART
	v_cvt_off_f32_i4 v25, v24
v_cvt_off_f32_i4 v26, v24, src0_sel:BYTE_2
v_cvt_pk_fp8_f32 v80, v25, v26
v_cvt_off_f32_i4 v25, v24, src0_sel:BYTE_1
v_cvt_off_f32_i4 v26, v24, src0_sel:BYTE_3
v_cvt_pk_fp8_f32 v81, v25, v26
v_lshrrev_b32 v27, 4, v24
v_cvt_off_f32_i4 v25, v27
v_cvt_off_f32_i4 v26, v27, src0_sel:BYTE_2
v_cvt_pk_fp8_f32 v80, v25, v26, op_sel:[0, 0, 1]
v_cvt_off_f32_i4 v25, v27, src0_sel:BYTE_1
v_cvt_off_f32_i4 v26, v27, src0_sel:BYTE_3
v_cvt_pk_fp8_f32 v81, v25, v26, op_sel:[0, 0, 1]

	;;#ASMEND
	v_perm_b32 v23, v179, v179, s16
	v_mov_b32_e32 v24, v177
	;;#ASMSTART
	v_cvt_off_f32_i4 v25, v24
v_cvt_off_f32_i4 v26, v24, src0_sel:BYTE_2
v_cvt_pk_fp8_f32 v82, v25, v26
v_cvt_off_f32_i4 v25, v24, src0_sel:BYTE_1
v_cvt_off_f32_i4 v26, v24, src0_sel:BYTE_3
v_cvt_pk_fp8_f32 v83, v25, v26
v_lshrrev_b32 v27, 4, v24
v_cvt_off_f32_i4 v25, v27
v_cvt_off_f32_i4 v26, v27, src0_sel:BYTE_2
v_cvt_pk_fp8_f32 v82, v25, v26, op_sel:[0, 0, 1]
v_cvt_off_f32_i4 v25, v27, src0_sel:BYTE_1
v_cvt_off_f32_i4 v26, v27, src0_sel:BYTE_3
v_cvt_pk_fp8_f32 v83, v25, v26, op_sel:[0, 0, 1]

	;;#ASMEND
	v_lshrrev_b32_e32 v111, 16, v145
	v_mov_b32_e32 v24, v178
	;;#ASMSTART
	v_cvt_off_f32_i4 v25, v24
v_cvt_off_f32_i4 v26, v24, src0_sel:BYTE_2
v_cvt_pk_fp8_f32 v84, v25, v26
v_cvt_off_f32_i4 v25, v24, src0_sel:BYTE_1
v_cvt_off_f32_i4 v26, v24, src0_sel:BYTE_3
v_cvt_pk_fp8_f32 v85, v25, v26
v_lshrrev_b32 v27, 4, v24
v_cvt_off_f32_i4 v25, v27
v_cvt_off_f32_i4 v26, v27, src0_sel:BYTE_2
v_cvt_pk_fp8_f32 v84, v25, v26, op_sel:[0, 0, 1]
v_cvt_off_f32_i4 v25, v27, src0_sel:BYTE_1
v_cvt_off_f32_i4 v26, v27, src0_sel:BYTE_3
v_cvt_pk_fp8_f32 v85, v25, v26, op_sel:[0, 0, 1]

	;;#ASMEND
	v_lshrrev_b32_e32 v127, 8, v145
	;;#ASMSTART
	v_cvt_off_f32_i4 v24, v23
v_cvt_off_f32_i4 v25, v23, src0_sel:BYTE_2
v_cvt_pk_fp8_f32 v86, v24, v25
v_cvt_off_f32_i4 v24, v23, src0_sel:BYTE_1
v_cvt_off_f32_i4 v25, v23, src0_sel:BYTE_3
v_cvt_pk_fp8_f32 v87, v24, v25
v_lshrrev_b32 v26, 4, v23
v_cvt_off_f32_i4 v24, v26
v_cvt_off_f32_i4 v25, v26, src0_sel:BYTE_2
v_cvt_pk_fp8_f32 v86, v24, v25, op_sel:[0, 0, 1]
v_cvt_off_f32_i4 v24, v26, src0_sel:BYTE_1
v_cvt_off_f32_i4 v25, v26, src0_sel:BYTE_3
v_cvt_pk_fp8_f32 v87, v24, v25, op_sel:[0, 0, 1]

	;;#ASMEND
	v_lshrrev_b32_e32 v125, 16, v144
	v_mov_b32_e32 v24, v164
	;;#ASMSTART
	v_cvt_off_f32_i4 v25, v24
v_cvt_off_f32_i4 v26, v24, src0_sel:BYTE_2
v_cvt_pk_fp8_f32 v96, v25, v26
v_cvt_off_f32_i4 v25, v24, src0_sel:BYTE_1
v_cvt_off_f32_i4 v26, v24, src0_sel:BYTE_3
v_cvt_pk_fp8_f32 v97, v25, v26
v_lshrrev_b32 v27, 4, v24
v_cvt_off_f32_i4 v25, v27
v_cvt_off_f32_i4 v26, v27, src0_sel:BYTE_2
v_cvt_pk_fp8_f32 v96, v25, v26, op_sel:[0, 0, 1]
v_cvt_off_f32_i4 v25, v27, src0_sel:BYTE_1
v_cvt_off_f32_i4 v26, v27, src0_sel:BYTE_3
v_cvt_pk_fp8_f32 v97, v25, v26, op_sel:[0, 0, 1]

	;;#ASMEND
	v_perm_b32 v23, v167, v167, s16
	v_mov_b32_e32 v24, v165
	;;#ASMSTART
	v_cvt_off_f32_i4 v25, v24
v_cvt_off_f32_i4 v26, v24, src0_sel:BYTE_2
v_cvt_pk_fp8_f32 v98, v25, v26
v_cvt_off_f32_i4 v25, v24, src0_sel:BYTE_1
v_cvt_off_f32_i4 v26, v24, src0_sel:BYTE_3
v_cvt_pk_fp8_f32 v99, v25, v26
v_lshrrev_b32 v27, 4, v24
v_cvt_off_f32_i4 v25, v27
v_cvt_off_f32_i4 v26, v27, src0_sel:BYTE_2
v_cvt_pk_fp8_f32 v98, v25, v26, op_sel:[0, 0, 1]
v_cvt_off_f32_i4 v25, v27, src0_sel:BYTE_1
v_cvt_off_f32_i4 v26, v27, src0_sel:BYTE_3
v_cvt_pk_fp8_f32 v99, v25, v26, op_sel:[0, 0, 1]

	;;#ASMEND
	v_lshrrev_b32_e32 v158, 8, v144
	v_mov_b32_e32 v24, v166
	;;#ASMSTART
	v_cvt_off_f32_i4 v25, v24
v_cvt_off_f32_i4 v26, v24, src0_sel:BYTE_2
v_cvt_pk_fp8_f32 v100, v25, v26
v_cvt_off_f32_i4 v25, v24, src0_sel:BYTE_1
v_cvt_off_f32_i4 v26, v24, src0_sel:BYTE_3
v_cvt_pk_fp8_f32 v101, v25, v26
v_lshrrev_b32 v27, 4, v24
v_cvt_off_f32_i4 v25, v27
v_cvt_off_f32_i4 v26, v27, src0_sel:BYTE_2
v_cvt_pk_fp8_f32 v100, v25, v26, op_sel:[0, 0, 1]
v_cvt_off_f32_i4 v25, v27, src0_sel:BYTE_1
v_cvt_off_f32_i4 v26, v27, src0_sel:BYTE_3
v_cvt_pk_fp8_f32 v101, v25, v26, op_sel:[0, 0, 1]

	;;#ASMEND
	v_lshrrev_b32_e32 v73, 8, v151
	;;#ASMSTART
	v_cvt_off_f32_i4 v24, v23
v_cvt_off_f32_i4 v25, v23, src0_sel:BYTE_2
v_cvt_pk_fp8_f32 v102, v24, v25
v_cvt_off_f32_i4 v24, v23, src0_sel:BYTE_1
v_cvt_off_f32_i4 v25, v23, src0_sel:BYTE_3
v_cvt_pk_fp8_f32 v103, v24, v25
v_lshrrev_b32 v26, 4, v23
v_cvt_off_f32_i4 v24, v26
v_cvt_off_f32_i4 v25, v26, src0_sel:BYTE_2
v_cvt_pk_fp8_f32 v102, v24, v25, op_sel:[0, 0, 1]
v_cvt_off_f32_i4 v24, v26, src0_sel:BYTE_1
v_cvt_off_f32_i4 v25, v26, src0_sel:BYTE_3
v_cvt_pk_fp8_f32 v103, v24, v25, op_sel:[0, 0, 1]

	;;#ASMEND
	v_lshrrev_b32_e32 v79, 16, v150
	v_mov_b32_e32 v24, v144
	;;#ASMSTART
	v_cvt_off_f32_i4 v25, v24
v_cvt_off_f32_i4 v26, v24, src0_sel:BYTE_2
v_cvt_pk_fp8_f32 v112, v25, v26
v_cvt_off_f32_i4 v25, v24, src0_sel:BYTE_1
v_cvt_off_f32_i4 v26, v24, src0_sel:BYTE_3
v_cvt_pk_fp8_f32 v113, v25, v26
v_lshrrev_b32 v27, 4, v24
v_cvt_off_f32_i4 v25, v27
v_cvt_off_f32_i4 v26, v27, src0_sel:BYTE_2
v_cvt_pk_fp8_f32 v112, v25, v26, op_sel:[0, 0, 1]
v_cvt_off_f32_i4 v25, v27, src0_sel:BYTE_1
v_cvt_off_f32_i4 v26, v27, src0_sel:BYTE_3
v_cvt_pk_fp8_f32 v113, v25, v26, op_sel:[0, 0, 1]

	;;#ASMEND
	v_perm_b32 v23, v147, v147, s16
	v_mov_b32_e32 v24, v145
	;;#ASMSTART
	v_cvt_off_f32_i4 v25, v24
v_cvt_off_f32_i4 v26, v24, src0_sel:BYTE_2
v_cvt_pk_fp8_f32 v114, v25, v26
v_cvt_off_f32_i4 v25, v24, src0_sel:BYTE_1
v_cvt_off_f32_i4 v26, v24, src0_sel:BYTE_3
v_cvt_pk_fp8_f32 v115, v25, v26
v_lshrrev_b32 v27, 4, v24
v_cvt_off_f32_i4 v25, v27
v_cvt_off_f32_i4 v26, v27, src0_sel:BYTE_2
v_cvt_pk_fp8_f32 v114, v25, v26, op_sel:[0, 0, 1]
v_cvt_off_f32_i4 v25, v27, src0_sel:BYTE_1
v_cvt_off_f32_i4 v26, v27, src0_sel:BYTE_3
v_cvt_pk_fp8_f32 v115, v25, v26, op_sel:[0, 0, 1]

	;;#ASMEND
	v_lshrrev_b32_e32 v153, 8, v149
	v_mov_b32_e32 v24, v146
	;;#ASMSTART
	v_cvt_off_f32_i4 v25, v24
v_cvt_off_f32_i4 v26, v24, src0_sel:BYTE_2
v_cvt_pk_fp8_f32 v116, v25, v26
v_cvt_off_f32_i4 v25, v24, src0_sel:BYTE_1
v_cvt_off_f32_i4 v26, v24, src0_sel:BYTE_3
v_cvt_pk_fp8_f32 v117, v25, v26
v_lshrrev_b32 v27, 4, v24
v_cvt_off_f32_i4 v25, v27
v_cvt_off_f32_i4 v26, v27, src0_sel:BYTE_2
v_cvt_pk_fp8_f32 v116, v25, v26, op_sel:[0, 0, 1]
v_cvt_off_f32_i4 v25, v27, src0_sel:BYTE_1
v_cvt_off_f32_i4 v26, v27, src0_sel:BYTE_3
v_cvt_pk_fp8_f32 v117, v25, v26, op_sel:[0, 0, 1]

	;;#ASMEND
	v_lshrrev_b32_e32 v139, 16, v148
	;;#ASMSTART
	v_cvt_off_f32_i4 v24, v23
v_cvt_off_f32_i4 v25, v23, src0_sel:BYTE_2
v_cvt_pk_fp8_f32 v118, v24, v25
v_cvt_off_f32_i4 v24, v23, src0_sel:BYTE_1
v_cvt_off_f32_i4 v25, v23, src0_sel:BYTE_3
v_cvt_pk_fp8_f32 v119, v24, v25
v_lshrrev_b32 v26, 4, v23
v_cvt_off_f32_i4 v24, v26
v_cvt_off_f32_i4 v25, v26, src0_sel:BYTE_2
v_cvt_pk_fp8_f32 v118, v24, v25, op_sel:[0, 0, 1]
v_cvt_off_f32_i4 v24, v26, src0_sel:BYTE_1
v_cvt_off_f32_i4 v25, v26, src0_sel:BYTE_3
v_cvt_pk_fp8_f32 v119, v24, v25, op_sel:[0, 0, 1]

	;;#ASMEND
	v_lshrrev_b32_e32 v175, 8, v148
	v_mov_b32_e32 v24, v148
	;;#ASMSTART
	v_cvt_off_f32_i4 v25, v24
v_cvt_off_f32_i4 v26, v24, src0_sel:BYTE_2
v_cvt_pk_fp8_f32 v128, v25, v26
v_cvt_off_f32_i4 v25, v24, src0_sel:BYTE_1
v_cvt_off_f32_i4 v26, v24, src0_sel:BYTE_3
v_cvt_pk_fp8_f32 v129, v25, v26
v_lshrrev_b32 v27, 4, v24
v_cvt_off_f32_i4 v25, v27
v_cvt_off_f32_i4 v26, v27, src0_sel:BYTE_2
v_cvt_pk_fp8_f32 v128, v25, v26, op_sel:[0, 0, 1]
v_cvt_off_f32_i4 v25, v27, src0_sel:BYTE_1
v_cvt_off_f32_i4 v26, v27, src0_sel:BYTE_3
v_cvt_pk_fp8_f32 v129, v25, v26, op_sel:[0, 0, 1]

	;;#ASMEND
	v_perm_b32 v23, v151, v151, s16
	v_mov_b32_e32 v24, v149
	;;#ASMSTART
	v_cvt_off_f32_i4 v25, v24
v_cvt_off_f32_i4 v26, v24, src0_sel:BYTE_2
v_cvt_pk_fp8_f32 v130, v25, v26
v_cvt_off_f32_i4 v25, v24, src0_sel:BYTE_1
v_cvt_off_f32_i4 v26, v24, src0_sel:BYTE_3
v_cvt_pk_fp8_f32 v131, v25, v26
v_lshrrev_b32 v27, 4, v24
v_cvt_off_f32_i4 v25, v27
v_cvt_off_f32_i4 v26, v27, src0_sel:BYTE_2
v_cvt_pk_fp8_f32 v130, v25, v26, op_sel:[0, 0, 1]
v_cvt_off_f32_i4 v25, v27, src0_sel:BYTE_1
v_cvt_off_f32_i4 v26, v27, src0_sel:BYTE_3
v_cvt_pk_fp8_f32 v131, v25, v26, op_sel:[0, 0, 1]

	;;#ASMEND
	v_lshrrev_b64 v[94:95], 24, v[150:151]
	v_mov_b32_e32 v24, v150
	;;#ASMSTART
	v_cvt_off_f32_i4 v25, v24
v_cvt_off_f32_i4 v26, v24, src0_sel:BYTE_2
v_cvt_pk_fp8_f32 v132, v25, v26
v_cvt_off_f32_i4 v25, v24, src0_sel:BYTE_1
v_cvt_off_f32_i4 v26, v24, src0_sel:BYTE_3
v_cvt_pk_fp8_f32 v133, v25, v26
v_lshrrev_b32 v27, 4, v24
v_cvt_off_f32_i4 v25, v27
v_cvt_off_f32_i4 v26, v27, src0_sel:BYTE_2
v_cvt_pk_fp8_f32 v132, v25, v26, op_sel:[0, 0, 1]
v_cvt_off_f32_i4 v25, v27, src0_sel:BYTE_1
v_cvt_off_f32_i4 v26, v27, src0_sel:BYTE_3
v_cvt_pk_fp8_f32 v133, v25, v26, op_sel:[0, 0, 1]

	;;#ASMEND
	v_lshrrev_b64 v[92:93], 24, v[148:149]
	;;#ASMSTART
	v_cvt_off_f32_i4 v24, v23
v_cvt_off_f32_i4 v25, v23, src0_sel:BYTE_2
v_cvt_pk_fp8_f32 v134, v24, v25
v_cvt_off_f32_i4 v24, v23, src0_sel:BYTE_1
v_cvt_off_f32_i4 v25, v23, src0_sel:BYTE_3
v_cvt_pk_fp8_f32 v135, v24, v25
v_lshrrev_b32 v26, 4, v23
v_cvt_off_f32_i4 v24, v26
v_cvt_off_f32_i4 v25, v26, src0_sel:BYTE_2
v_cvt_pk_fp8_f32 v134, v24, v25, op_sel:[0, 0, 1]
v_cvt_off_f32_i4 v24, v26, src0_sel:BYTE_1
v_cvt_off_f32_i4 v25, v26, src0_sel:BYTE_3
v_cvt_pk_fp8_f32 v135, v24, v25, op_sel:[0, 0, 1]

	;;#ASMEND
	v_lshrrev_b32_e32 v159, 24, v163
	v_mov_b32_e32 v26, v160
	;;#ASMSTART
	v_cvt_off_f32_i4 v27, v26
v_cvt_off_f32_i4 v28, v26, src0_sel:BYTE_2
v_cvt_pk_fp8_f32 v24, v27, v28
v_cvt_off_f32_i4 v27, v26, src0_sel:BYTE_1
v_cvt_off_f32_i4 v28, v26, src0_sel:BYTE_3
v_cvt_pk_fp8_f32 v25, v27, v28
v_lshrrev_b32 v29, 4, v26
v_cvt_off_f32_i4 v27, v29
v_cvt_off_f32_i4 v28, v29, src0_sel:BYTE_2
v_cvt_pk_fp8_f32 v24, v27, v28, op_sel:[0, 0, 1]
v_cvt_off_f32_i4 v27, v29, src0_sel:BYTE_1
v_cvt_off_f32_i4 v28, v29, src0_sel:BYTE_3
v_cvt_pk_fp8_f32 v25, v27, v28, op_sel:[0, 0, 1]

	;;#ASMEND
	v_perm_b32 v23, v163, v163, s16
	v_mov_b32_e32 v28, v161
	;;#ASMSTART
	v_cvt_off_f32_i4 v29, v28
v_cvt_off_f32_i4 v30, v28, src0_sel:BYTE_2
v_cvt_pk_fp8_f32 v26, v29, v30
v_cvt_off_f32_i4 v29, v28, src0_sel:BYTE_1
v_cvt_off_f32_i4 v30, v28, src0_sel:BYTE_3
v_cvt_pk_fp8_f32 v27, v29, v30
v_lshrrev_b32 v31, 4, v28
v_cvt_off_f32_i4 v29, v31
v_cvt_off_f32_i4 v30, v31, src0_sel:BYTE_2
v_cvt_pk_fp8_f32 v26, v29, v30, op_sel:[0, 0, 1]
v_cvt_off_f32_i4 v29, v31, src0_sel:BYTE_1
v_cvt_off_f32_i4 v30, v31, src0_sel:BYTE_3
v_cvt_pk_fp8_f32 v27, v29, v30, op_sel:[0, 0, 1]

	;;#ASMEND
	v_lshrrev_b32_e32 v169, 16, v163
	v_mov_b32_e32 v30, v162
	;;#ASMSTART
	v_cvt_off_f32_i4 v31, v30
v_cvt_off_f32_i4 v208, v30, src0_sel:BYTE_2
v_cvt_pk_fp8_f32 v28, v31, v208
v_cvt_off_f32_i4 v31, v30, src0_sel:BYTE_1
v_cvt_off_f32_i4 v208, v30, src0_sel:BYTE_3
v_cvt_pk_fp8_f32 v29, v31, v208
v_lshrrev_b32 v209, 4, v30
v_cvt_off_f32_i4 v31, v209
v_cvt_off_f32_i4 v208, v209, src0_sel:BYTE_2
v_cvt_pk_fp8_f32 v28, v31, v208, op_sel:[0, 0, 1]
v_cvt_off_f32_i4 v31, v209, src0_sel:BYTE_1
v_cvt_off_f32_i4 v208, v209, src0_sel:BYTE_3
v_cvt_pk_fp8_f32 v29, v31, v208, op_sel:[0, 0, 1]

	;;#ASMEND
	v_lshrrev_b32_e32 v168, 8, v163
	;;#ASMSTART
	v_cvt_off_f32_i4 v208, v23
v_cvt_off_f32_i4 v209, v23, src0_sel:BYTE_2
v_cvt_pk_fp8_f32 v30, v208, v209
v_cvt_off_f32_i4 v208, v23, src0_sel:BYTE_1
v_cvt_off_f32_i4 v209, v23, src0_sel:BYTE_3
v_cvt_pk_fp8_f32 v31, v208, v209
v_lshrrev_b32 v210, 4, v23
v_cvt_off_f32_i4 v208, v210
v_cvt_off_f32_i4 v209, v210, src0_sel:BYTE_2
v_cvt_pk_fp8_f32 v30, v208, v209, op_sel:[0, 0, 1]
v_cvt_off_f32_i4 v208, v210, src0_sel:BYTE_1
v_cvt_off_f32_i4 v209, v210, src0_sel:BYTE_3
v_cvt_pk_fp8_f32 v31, v208, v209, op_sel:[0, 0, 1]

	;;#ASMEND
	v_lshrrev_b32_e32 v170, 16, v162
	v_mov_b64_e32 v[210:211], s[14:15]
	v_lshrrev_b32_e32 v173, 8, v162
	v_lshrrev_b32_e32 v171, 24, v161
	;; [unrolled: 1-line block ×6, first 2 shown]
	v_lshrrev_b64 v[90:91], 24, v[162:163]
	v_lshrrev_b64 v[88:89], 24, v[160:161]
	v_mov_b64_e32 v[208:209], s[12:13]
	flat_store_dwordx4 v[20:21], v[208:211]
	flat_store_dwordx4 v[20:21], v[208:211] offset:16
	flat_store_dwordx4 v[20:21], v[208:211] offset:32
	;; [unrolled: 1-line block ×63, first 2 shown]
	; sched_barrier mask(0x00000000)
	v_add_u32_e32 v22, -2, v22
	v_accvgpr_write_b32 a46, v22
	s_mov_b64 s[14:15], 0
	v_mov_b32_e32 v75, 0
	v_mov_b32_e32 v77, 0x20000
	s_mov_b32 s13, 0xc0c0004
	s_mov_b32 s17, 0x3020104
	;; [unrolled: 1-line block ×3, first 2 shown]
	s_movk_i32 s19, 0x60
	s_movk_i32 s20, 0x80
	;; [unrolled: 1-line block ×5, first 2 shown]
	s_branch .LBB3_64
.LBB3_63:                               ;   in Loop: Header=BB3_64 Depth=1
	s_or_b64 exec, exec, s[0:1]
	flat_load_dwordx4 a[8:11], v[20:21] offset:256
	v_lshrrev_b64 v[106:107], 24, v[198:199]
	v_lshrrev_b64 v[104:105], 24, v[196:197]
	;; [unrolled: 1-line block ×12, first 2 shown]
	v_lshrrev_b32_e32 v190, 24, v199
	v_lshrrev_b32_e32 v200, 16, v199
	;; [unrolled: 1-line block ×67, first 2 shown]
	s_waitcnt vmcnt(0) lgkmcnt(0)
	v_mfma_f32_16x16x128_f8f6f4 a[8:11], a[0:7], v[112:119], a[8:11]
	flat_load_dwordx4 a[12:15], v[20:21] offset:272
	v_lshrrev_b32_e32 v173, 8, v162
	v_lshrrev_b32_e32 v171, 24, v161
	;; [unrolled: 1-line block ×6, first 2 shown]
	v_lshrrev_b64 v[94:95], 24, v[150:151]
	v_lshrrev_b64 v[92:93], 24, v[148:149]
	;; [unrolled: 1-line block ×4, first 2 shown]
	; sched_group_barrier mask(0x00000008) size(0) SyncID(0)
	; sched_group_barrier mask(0x00000020) size(1) SyncID(0)
	;; [unrolled: 1-line block ×6, first 2 shown]
	s_waitcnt vmcnt(0) lgkmcnt(0)
	v_mfma_f32_16x16x128_f8f6f4 a[12:15], a[0:7], v[128:135], a[12:15]
	flat_load_dwordx4 a[16:19], v[20:21] offset:336
	; sched_group_barrier mask(0x00000008) size(1) SyncID(0)
	; sched_group_barrier mask(0x00000100) size(1) SyncID(0)
	s_nop 0
	flat_store_dwordx4 v[20:21], a[8:11] offset:256
	s_nop 8
	flat_store_dwordx4 v[20:21], a[12:15] offset:272
	s_waitcnt vmcnt(0) lgkmcnt(0)
	v_mfma_f32_16x16x128_f8f6f4 a[16:19], a[0:7], v[64:71], a[16:19]
	flat_load_dwordx4 a[20:23], v[20:21] offset:352
	s_nop 10
	flat_store_dwordx4 v[20:21], a[16:19] offset:336
	s_waitcnt vmcnt(0) lgkmcnt(0)
	v_mfma_f32_16x16x128_f8f6f4 a[20:23], a[0:7], v[80:87], a[20:23]
	flat_load_dwordx4 a[24:27], v[20:21] offset:368
	;; [unrolled: 5-line block ×4, first 2 shown]
	v_lshrrev_b32_e32 v29, 24, v147
	v_accvgpr_write_b32 a49, v29
	v_lshrrev_b32_e32 v29, 16, v147
	v_accvgpr_write_b32 a50, v29
	;; [unrolled: 2-line block ×3, first 2 shown]
	s_nop 4
	flat_store_dwordx4 v[20:21], a[28:31] offset:288
	v_lshrrev_b32_e32 v29, 16, v151
	v_accvgpr_write_b32 a48, v29
	v_lshrrev_b32_e32 v29, 8, v150
	v_accvgpr_write_b32 a53, v29
	;; [unrolled: 2-line block ×4, first 2 shown]
	s_waitcnt vmcnt(0) lgkmcnt(0)
	v_mfma_f32_16x16x128_f8f6f4 a[32:35], a[0:7], v[48:55], a[32:35]
	flat_load_dwordx4 a[36:39], v[20:21] offset:320
	s_nop 10
	flat_store_dwordx4 v[20:21], a[32:35] offset:304
	s_waitcnt vmcnt(0) lgkmcnt(0)
	v_mfma_f32_16x16x128_f8f6f4 a[0:3], a[0:7], v[30:37], a[36:39]
	; sched_group_barrier mask(0x00000008) size(1) SyncID(0)
	; sched_group_barrier mask(0x00000020) size(1) SyncID(0)
	;; [unrolled: 1-line block ×12, first 2 shown]
	s_nop 11
	flat_store_dwordx4 v[20:21], a[0:3] offset:320
	flat_load_dwordx2 v[30:31], v[0:1] offset:1148
	flat_load_dwordx2 v[32:33], v[0:1] offset:1164
	flat_load_dwordx4 v[22:25], v[0:1] offset:1176
	flat_load_dwordx3 v[26:28], v[0:1] offset:1132
	flat_load_dwordx2 v[34:35], v[8:9] offset:16
	s_waitcnt vmcnt(0) lgkmcnt(0)
	v_sub_u32_e32 v29, v30, v33
	v_add_u32_e32 v25, 16, v25
	v_add_u32_e32 v22, v32, v22
	v_add3_u32 v23, v29, v23, s19
	v_sub_u32_e32 v30, v31, v32
	v_ashrrev_i32_e32 v29, 31, v25
	v_sub_u32_e32 v22, v31, v22
	v_ashrrev_i32_e32 v31, 31, v23
	v_sub_u32_e32 v28, v23, v28
	v_lshrrev_b32_e32 v29, 28, v29
	v_lshrrev_b32_e32 v31, 29, v31
	v_lshl_add_u32 v26, v28, 7, v26
	v_add_u32_e32 v28, v25, v29
	v_add_u32_e32 v29, v23, v31
	v_lshrrev_b32_e32 v31, 4, v28
	v_and_b32_e32 v29, -8, v29
	v_and_b32_e32 v28, -16, v28
	v_add_u32_e32 v22, v22, v31
	v_sub_u32_e32 v23, v23, v29
	v_sub_u32_e32 v25, v25, v28
	v_xor_b32_e32 v28, v23, v30
	v_xor_b32_e32 v22, v22, v23
	v_sub_u32_e32 v23, v28, v27
	v_sub_u32_e32 v27, v22, v27
	;; [unrolled: 1-line block ×3, first 2 shown]
	v_lshl_add_u32 v22, v23, 4, v26
	v_lshlrev_b32_e32 v26, 4, v27
	v_ashrrev_i32_e32 v23, 31, v22
	v_add3_u32 v24, v24, v25, v26
	v_lshl_add_u64 v[22:23], v[34:35], 0, v[22:23]
	v_ashrrev_i32_e32 v25, 31, v24
	flat_load_dwordx4 a[4:7], v[22:23]
	v_lshl_add_u64 v[22:23], v[34:35], 0, v[24:25]
	flat_load_dwordx4 a[8:11], v[22:23]
	v_mov_b32_e32 v24, v208
	;;#ASMSTART
	v_cvt_off_f32_i4 v25, v24
v_cvt_off_f32_i4 v26, v24, src0_sel:BYTE_2
v_cvt_pk_fp8_f32 v22, v25, v26
v_cvt_off_f32_i4 v25, v24, src0_sel:BYTE_1
v_cvt_off_f32_i4 v26, v24, src0_sel:BYTE_3
v_cvt_pk_fp8_f32 v23, v25, v26
v_lshrrev_b32 v27, 4, v24
v_cvt_off_f32_i4 v25, v27
v_cvt_off_f32_i4 v26, v27, src0_sel:BYTE_2
v_cvt_pk_fp8_f32 v22, v25, v26, op_sel:[0, 0, 1]
v_cvt_off_f32_i4 v25, v27, src0_sel:BYTE_1
v_cvt_off_f32_i4 v26, v27, src0_sel:BYTE_3
v_cvt_pk_fp8_f32 v23, v25, v26, op_sel:[0, 0, 1]

	;;#ASMEND
	s_nop 0
	v_mov_b32_e32 v26, v209
	;;#ASMSTART
	v_cvt_off_f32_i4 v27, v26
v_cvt_off_f32_i4 v28, v26, src0_sel:BYTE_2
v_cvt_pk_fp8_f32 v24, v27, v28
v_cvt_off_f32_i4 v27, v26, src0_sel:BYTE_1
v_cvt_off_f32_i4 v28, v26, src0_sel:BYTE_3
v_cvt_pk_fp8_f32 v25, v27, v28
v_lshrrev_b32 v29, 4, v26
v_cvt_off_f32_i4 v27, v29
v_cvt_off_f32_i4 v28, v29, src0_sel:BYTE_2
v_cvt_pk_fp8_f32 v24, v27, v28, op_sel:[0, 0, 1]
v_cvt_off_f32_i4 v27, v29, src0_sel:BYTE_1
v_cvt_off_f32_i4 v28, v29, src0_sel:BYTE_3
v_cvt_pk_fp8_f32 v25, v27, v28, op_sel:[0, 0, 1]

	;;#ASMEND
	s_nop 0
	;; [unrolled: 18-line block ×31, first 2 shown]
	v_mov_b32_e32 v38, v47
	;;#ASMSTART
	v_cvt_off_f32_i4 v39, v38
v_cvt_off_f32_i4 v56, v38, src0_sel:BYTE_2
v_cvt_pk_fp8_f32 v134, v39, v56
v_cvt_off_f32_i4 v39, v38, src0_sel:BYTE_1
v_cvt_off_f32_i4 v56, v38, src0_sel:BYTE_3
v_cvt_pk_fp8_f32 v135, v39, v56
v_lshrrev_b32 v57, 4, v38
v_cvt_off_f32_i4 v39, v57
v_cvt_off_f32_i4 v56, v57, src0_sel:BYTE_2
v_cvt_pk_fp8_f32 v134, v39, v56, op_sel:[0, 0, 1]
v_cvt_off_f32_i4 v39, v57, src0_sel:BYTE_1
v_cvt_off_f32_i4 v56, v57, src0_sel:BYTE_3
v_cvt_pk_fp8_f32 v135, v39, v56, op_sel:[0, 0, 1]

	;;#ASMEND
	; sched_barrier mask(0x00000000)
	flat_load_dwordx4 a[0:3], v[20:21] offset:384
	s_waitcnt vmcnt(0) lgkmcnt(0)
	v_mfma_f32_16x16x128_f8f6f4 a[0:3], a[4:11], v[22:29], a[0:3]
	s_nop 11
	flat_store_dwordx4 v[20:21], a[0:3] offset:384
	flat_load_dwordx4 a[0:3], v[20:21] offset:400
	s_waitcnt vmcnt(0) lgkmcnt(0)
	v_mfma_f32_16x16x128_f8f6f4 a[0:3], a[4:11], v[30:37], a[0:3]
	s_nop 11
	flat_store_dwordx4 v[20:21], a[0:3] offset:400
	;; [unrolled: 5-line block ×3, first 2 shown]
	flat_load_dwordx4 a[0:3], v[20:21] offset:432
	s_waitcnt vmcnt(0) lgkmcnt(0)
	v_mfma_f32_16x16x128_f8f6f4 a[0:3], a[4:11], v[64:71], a[0:3]
	; sched_group_barrier mask(0x00000008) size(4) SyncID(0)
	; sched_group_barrier mask(0x00000100) size(1) SyncID(0)
	s_nop 11
	flat_store_dwordx4 v[20:21], a[0:3] offset:432
	flat_load_dwordx4 a[0:3], v[20:21] offset:448
	s_waitcnt vmcnt(0) lgkmcnt(0)
	v_mfma_f32_16x16x128_f8f6f4 a[0:3], a[4:11], v[80:87], a[0:3]
	s_nop 11
	flat_store_dwordx4 v[20:21], a[0:3] offset:448
	flat_load_dwordx4 a[0:3], v[20:21] offset:464
	s_waitcnt vmcnt(0) lgkmcnt(0)
	v_mfma_f32_16x16x128_f8f6f4 a[0:3], a[4:11], v[96:103], a[0:3]
	;; [unrolled: 5-line block ×4, first 2 shown]
	; sched_group_barrier mask(0x00000008) size(4) SyncID(0)
	; sched_group_barrier mask(0x00000100) size(1) SyncID(0)
	s_nop 11
	flat_store_dwordx4 v[20:21], a[0:3] offset:496
	flat_load_dwordx2 v[30:31], v[0:1] offset:1148
	flat_load_dwordx2 v[32:33], v[0:1] offset:1164
	flat_load_dwordx4 v[22:25], v[0:1] offset:1176
	flat_load_dwordx3 v[26:28], v[0:1] offset:1132
	flat_load_dwordx2 v[34:35], v[8:9] offset:16
	s_waitcnt vmcnt(0) lgkmcnt(0)
	v_sub_u32_e32 v29, v30, v33
	v_add3_u32 v23, v29, v23, s20
	v_ashrrev_i32_e32 v30, 31, v23
	v_lshrrev_b32_e32 v30, 29, v30
	v_add_u32_e32 v30, v23, v30
	v_and_b32_e32 v30, -8, v30
	v_sub_u32_e32 v29, v31, v32
	v_sub_u32_e32 v30, v23, v30
	v_xor_b32_e32 v29, v30, v29
	v_sub_u32_e32 v23, v23, v28
	v_sub_u32_e32 v28, v29, v27
	v_lshl_add_u32 v23, v23, 7, v26
	v_add_u32_e32 v25, 16, v25
	v_lshl_add_u32 v28, v28, 4, v23
	v_ashrrev_i32_e32 v26, 31, v25
	v_ashrrev_i32_e32 v29, 31, v28
	v_lshrrev_b32_e32 v26, 28, v26
	v_lshl_add_u64 v[28:29], v[34:35], 0, v[28:29]
	v_add_u32_e32 v26, v25, v26
	v_add_u32_e32 v22, v32, v22
	flat_load_dwordx4 a[4:7], v[28:29]
	v_lshrrev_b32_e32 v28, 4, v26
	v_sub_u32_e32 v22, v31, v22
	v_add_u32_e32 v22, v22, v28
	v_xor_b32_e32 v22, v22, v30
	v_and_b32_e32 v26, -16, v26
	v_sub_u32_e32 v22, v22, v27
	v_sub_u32_e32 v25, v25, v26
	v_lshlrev_b32_e32 v22, 4, v22
	v_sub_u32_e32 v23, v23, v24
	v_add3_u32 v22, v23, v25, v22
	v_ashrrev_i32_e32 v23, 31, v22
	v_lshl_add_u64 v[22:23], v[34:35], 0, v[22:23]
	flat_load_dwordx4 a[8:11], v[22:23]
	v_mov_b32_e32 v24, v208
	;;#ASMSTART
	v_cvt_off_f32_i4 v25, v24
v_cvt_off_f32_i4 v26, v24, src0_sel:BYTE_2
v_cvt_pk_fp8_f32 v22, v25, v26
v_cvt_off_f32_i4 v25, v24, src0_sel:BYTE_1
v_cvt_off_f32_i4 v26, v24, src0_sel:BYTE_3
v_cvt_pk_fp8_f32 v23, v25, v26
v_lshrrev_b32 v27, 4, v24
v_cvt_off_f32_i4 v25, v27
v_cvt_off_f32_i4 v26, v27, src0_sel:BYTE_2
v_cvt_pk_fp8_f32 v22, v25, v26, op_sel:[0, 0, 1]
v_cvt_off_f32_i4 v25, v27, src0_sel:BYTE_1
v_cvt_off_f32_i4 v26, v27, src0_sel:BYTE_3
v_cvt_pk_fp8_f32 v23, v25, v26, op_sel:[0, 0, 1]

	;;#ASMEND
	s_nop 0
	v_mov_b32_e32 v26, v209
	;;#ASMSTART
	v_cvt_off_f32_i4 v27, v26
v_cvt_off_f32_i4 v28, v26, src0_sel:BYTE_2
v_cvt_pk_fp8_f32 v24, v27, v28
v_cvt_off_f32_i4 v27, v26, src0_sel:BYTE_1
v_cvt_off_f32_i4 v28, v26, src0_sel:BYTE_3
v_cvt_pk_fp8_f32 v25, v27, v28
v_lshrrev_b32 v29, 4, v26
v_cvt_off_f32_i4 v27, v29
v_cvt_off_f32_i4 v28, v29, src0_sel:BYTE_2
v_cvt_pk_fp8_f32 v24, v27, v28, op_sel:[0, 0, 1]
v_cvt_off_f32_i4 v27, v29, src0_sel:BYTE_1
v_cvt_off_f32_i4 v28, v29, src0_sel:BYTE_3
v_cvt_pk_fp8_f32 v25, v27, v28, op_sel:[0, 0, 1]

	;;#ASMEND
	s_nop 0
	;; [unrolled: 18-line block ×31, first 2 shown]
	v_mov_b32_e32 v38, v47
	;;#ASMSTART
	v_cvt_off_f32_i4 v39, v38
v_cvt_off_f32_i4 v56, v38, src0_sel:BYTE_2
v_cvt_pk_fp8_f32 v134, v39, v56
v_cvt_off_f32_i4 v39, v38, src0_sel:BYTE_1
v_cvt_off_f32_i4 v56, v38, src0_sel:BYTE_3
v_cvt_pk_fp8_f32 v135, v39, v56
v_lshrrev_b32 v57, 4, v38
v_cvt_off_f32_i4 v39, v57
v_cvt_off_f32_i4 v56, v57, src0_sel:BYTE_2
v_cvt_pk_fp8_f32 v134, v39, v56, op_sel:[0, 0, 1]
v_cvt_off_f32_i4 v39, v57, src0_sel:BYTE_1
v_cvt_off_f32_i4 v56, v57, src0_sel:BYTE_3
v_cvt_pk_fp8_f32 v135, v39, v56, op_sel:[0, 0, 1]

	;;#ASMEND
	; sched_barrier mask(0x00000000)
	flat_load_dwordx4 a[0:3], v[20:21] offset:512
	s_waitcnt vmcnt(0) lgkmcnt(0)
	v_mfma_f32_16x16x128_f8f6f4 a[0:3], a[4:11], v[22:29], a[0:3]
	s_nop 11
	flat_store_dwordx4 v[20:21], a[0:3] offset:512
	flat_load_dwordx4 a[0:3], v[20:21] offset:528
	s_waitcnt vmcnt(0) lgkmcnt(0)
	v_mfma_f32_16x16x128_f8f6f4 a[0:3], a[4:11], v[30:37], a[0:3]
	s_nop 11
	flat_store_dwordx4 v[20:21], a[0:3] offset:528
	;; [unrolled: 5-line block ×3, first 2 shown]
	flat_load_dwordx4 a[0:3], v[20:21] offset:560
	s_waitcnt vmcnt(0) lgkmcnt(0)
	v_mfma_f32_16x16x128_f8f6f4 a[0:3], a[4:11], v[64:71], a[0:3]
	; sched_group_barrier mask(0x00000008) size(4) SyncID(0)
	; sched_group_barrier mask(0x00000100) size(1) SyncID(0)
	s_nop 11
	flat_store_dwordx4 v[20:21], a[0:3] offset:560
	flat_load_dwordx4 a[0:3], v[20:21] offset:576
	s_waitcnt vmcnt(0) lgkmcnt(0)
	v_mfma_f32_16x16x128_f8f6f4 a[0:3], a[4:11], v[80:87], a[0:3]
	s_nop 11
	flat_store_dwordx4 v[20:21], a[0:3] offset:576
	flat_load_dwordx4 a[0:3], v[20:21] offset:592
	s_waitcnt vmcnt(0) lgkmcnt(0)
	v_mfma_f32_16x16x128_f8f6f4 a[0:3], a[4:11], v[96:103], a[0:3]
	;; [unrolled: 5-line block ×4, first 2 shown]
	; sched_group_barrier mask(0x00000008) size(4) SyncID(0)
	; sched_group_barrier mask(0x00000100) size(1) SyncID(0)
	s_nop 11
	flat_store_dwordx4 v[20:21], a[0:3] offset:624
	flat_load_dwordx2 v[30:31], v[0:1] offset:1148
	flat_load_dwordx2 v[32:33], v[0:1] offset:1164
	flat_load_dwordx4 v[22:25], v[0:1] offset:1176
	flat_load_dwordx3 v[26:28], v[0:1] offset:1132
	flat_load_dwordx2 v[34:35], v[8:9] offset:16
	s_waitcnt vmcnt(0) lgkmcnt(0)
	v_sub_u32_e32 v29, v30, v33
	v_add3_u32 v23, v29, v23, s21
	v_ashrrev_i32_e32 v30, 31, v23
	v_lshrrev_b32_e32 v30, 29, v30
	v_add_u32_e32 v30, v23, v30
	v_and_b32_e32 v30, -8, v30
	v_sub_u32_e32 v29, v31, v32
	v_sub_u32_e32 v30, v23, v30
	v_xor_b32_e32 v29, v30, v29
	v_sub_u32_e32 v23, v23, v28
	v_sub_u32_e32 v28, v29, v27
	v_lshl_add_u32 v23, v23, 7, v26
	v_add_u32_e32 v25, 16, v25
	v_lshl_add_u32 v28, v28, 4, v23
	v_ashrrev_i32_e32 v26, 31, v25
	v_ashrrev_i32_e32 v29, 31, v28
	v_lshrrev_b32_e32 v26, 28, v26
	v_lshl_add_u64 v[28:29], v[34:35], 0, v[28:29]
	v_add_u32_e32 v26, v25, v26
	v_add_u32_e32 v22, v32, v22
	flat_load_dwordx4 a[4:7], v[28:29]
	v_lshrrev_b32_e32 v28, 4, v26
	v_sub_u32_e32 v22, v31, v22
	v_add_u32_e32 v22, v22, v28
	v_xor_b32_e32 v22, v22, v30
	v_and_b32_e32 v26, -16, v26
	v_sub_u32_e32 v22, v22, v27
	v_sub_u32_e32 v25, v25, v26
	v_lshlrev_b32_e32 v22, 4, v22
	v_sub_u32_e32 v23, v23, v24
	v_add3_u32 v22, v23, v25, v22
	v_ashrrev_i32_e32 v23, 31, v22
	v_lshl_add_u64 v[22:23], v[34:35], 0, v[22:23]
	flat_load_dwordx4 a[8:11], v[22:23]
	v_mov_b32_e32 v24, v208
	;;#ASMSTART
	v_cvt_off_f32_i4 v25, v24
v_cvt_off_f32_i4 v26, v24, src0_sel:BYTE_2
v_cvt_pk_fp8_f32 v22, v25, v26
v_cvt_off_f32_i4 v25, v24, src0_sel:BYTE_1
v_cvt_off_f32_i4 v26, v24, src0_sel:BYTE_3
v_cvt_pk_fp8_f32 v23, v25, v26
v_lshrrev_b32 v27, 4, v24
v_cvt_off_f32_i4 v25, v27
v_cvt_off_f32_i4 v26, v27, src0_sel:BYTE_2
v_cvt_pk_fp8_f32 v22, v25, v26, op_sel:[0, 0, 1]
v_cvt_off_f32_i4 v25, v27, src0_sel:BYTE_1
v_cvt_off_f32_i4 v26, v27, src0_sel:BYTE_3
v_cvt_pk_fp8_f32 v23, v25, v26, op_sel:[0, 0, 1]

	;;#ASMEND
	s_nop 0
	v_mov_b32_e32 v26, v209
	;;#ASMSTART
	v_cvt_off_f32_i4 v27, v26
v_cvt_off_f32_i4 v28, v26, src0_sel:BYTE_2
v_cvt_pk_fp8_f32 v24, v27, v28
v_cvt_off_f32_i4 v27, v26, src0_sel:BYTE_1
v_cvt_off_f32_i4 v28, v26, src0_sel:BYTE_3
v_cvt_pk_fp8_f32 v25, v27, v28
v_lshrrev_b32 v29, 4, v26
v_cvt_off_f32_i4 v27, v29
v_cvt_off_f32_i4 v28, v29, src0_sel:BYTE_2
v_cvt_pk_fp8_f32 v24, v27, v28, op_sel:[0, 0, 1]
v_cvt_off_f32_i4 v27, v29, src0_sel:BYTE_1
v_cvt_off_f32_i4 v28, v29, src0_sel:BYTE_3
v_cvt_pk_fp8_f32 v25, v27, v28, op_sel:[0, 0, 1]

	;;#ASMEND
	s_nop 0
	;; [unrolled: 18-line block ×31, first 2 shown]
	v_mov_b32_e32 v38, v47
	;;#ASMSTART
	v_cvt_off_f32_i4 v39, v38
v_cvt_off_f32_i4 v56, v38, src0_sel:BYTE_2
v_cvt_pk_fp8_f32 v134, v39, v56
v_cvt_off_f32_i4 v39, v38, src0_sel:BYTE_1
v_cvt_off_f32_i4 v56, v38, src0_sel:BYTE_3
v_cvt_pk_fp8_f32 v135, v39, v56
v_lshrrev_b32 v57, 4, v38
v_cvt_off_f32_i4 v39, v57
v_cvt_off_f32_i4 v56, v57, src0_sel:BYTE_2
v_cvt_pk_fp8_f32 v134, v39, v56, op_sel:[0, 0, 1]
v_cvt_off_f32_i4 v39, v57, src0_sel:BYTE_1
v_cvt_off_f32_i4 v56, v57, src0_sel:BYTE_3
v_cvt_pk_fp8_f32 v135, v39, v56, op_sel:[0, 0, 1]

	;;#ASMEND
	; sched_barrier mask(0x00000000)
	flat_load_dwordx4 a[0:3], v[20:21] offset:640
	s_waitcnt vmcnt(0) lgkmcnt(0)
	v_mfma_f32_16x16x128_f8f6f4 a[0:3], a[4:11], v[22:29], a[0:3]
	s_nop 11
	flat_store_dwordx4 v[20:21], a[0:3] offset:640
	flat_load_dwordx4 a[0:3], v[20:21] offset:656
	s_waitcnt vmcnt(0) lgkmcnt(0)
	v_mfma_f32_16x16x128_f8f6f4 a[0:3], a[4:11], v[30:37], a[0:3]
	s_nop 11
	flat_store_dwordx4 v[20:21], a[0:3] offset:656
	;; [unrolled: 5-line block ×3, first 2 shown]
	flat_load_dwordx4 a[0:3], v[20:21] offset:688
	s_waitcnt vmcnt(0) lgkmcnt(0)
	v_mfma_f32_16x16x128_f8f6f4 a[0:3], a[4:11], v[64:71], a[0:3]
	; sched_group_barrier mask(0x00000008) size(4) SyncID(0)
	; sched_group_barrier mask(0x00000100) size(1) SyncID(0)
	s_nop 11
	flat_store_dwordx4 v[20:21], a[0:3] offset:688
	flat_load_dwordx4 a[0:3], v[20:21] offset:704
	s_waitcnt vmcnt(0) lgkmcnt(0)
	v_mfma_f32_16x16x128_f8f6f4 a[0:3], a[4:11], v[80:87], a[0:3]
	s_nop 11
	flat_store_dwordx4 v[20:21], a[0:3] offset:704
	flat_load_dwordx4 a[0:3], v[20:21] offset:720
	s_waitcnt vmcnt(0) lgkmcnt(0)
	v_mfma_f32_16x16x128_f8f6f4 a[0:3], a[4:11], v[96:103], a[0:3]
	;; [unrolled: 5-line block ×4, first 2 shown]
	; sched_group_barrier mask(0x00000008) size(4) SyncID(0)
	; sched_group_barrier mask(0x00000100) size(1) SyncID(0)
	s_nop 11
	flat_store_dwordx4 v[20:21], a[0:3] offset:752
	flat_load_dwordx2 v[30:31], v[0:1] offset:1148
	flat_load_dwordx2 v[32:33], v[0:1] offset:1164
	flat_load_dwordx4 v[22:25], v[0:1] offset:1176
	flat_load_dwordx3 v[26:28], v[0:1] offset:1132
	flat_load_dwordx2 v[34:35], v[8:9] offset:16
	s_waitcnt vmcnt(0) lgkmcnt(0)
	v_sub_u32_e32 v29, v30, v33
	v_add3_u32 v23, v29, v23, s22
	v_ashrrev_i32_e32 v30, 31, v23
	v_lshrrev_b32_e32 v30, 29, v30
	v_add_u32_e32 v30, v23, v30
	v_and_b32_e32 v30, -8, v30
	v_sub_u32_e32 v29, v31, v32
	v_sub_u32_e32 v30, v23, v30
	v_xor_b32_e32 v29, v30, v29
	v_sub_u32_e32 v23, v23, v28
	v_sub_u32_e32 v28, v29, v27
	v_lshl_add_u32 v23, v23, 7, v26
	v_add_u32_e32 v25, 16, v25
	v_lshl_add_u32 v28, v28, 4, v23
	v_ashrrev_i32_e32 v26, 31, v25
	v_ashrrev_i32_e32 v29, 31, v28
	v_lshrrev_b32_e32 v26, 28, v26
	v_lshl_add_u64 v[28:29], v[34:35], 0, v[28:29]
	v_add_u32_e32 v26, v25, v26
	v_add_u32_e32 v22, v32, v22
	flat_load_dwordx4 a[4:7], v[28:29]
	v_lshrrev_b32_e32 v28, 4, v26
	v_sub_u32_e32 v22, v31, v22
	v_add_u32_e32 v22, v22, v28
	v_xor_b32_e32 v22, v22, v30
	v_and_b32_e32 v26, -16, v26
	v_sub_u32_e32 v22, v22, v27
	v_sub_u32_e32 v25, v25, v26
	v_lshlrev_b32_e32 v22, 4, v22
	v_sub_u32_e32 v23, v23, v24
	v_add3_u32 v22, v23, v25, v22
	v_ashrrev_i32_e32 v23, 31, v22
	v_lshl_add_u64 v[22:23], v[34:35], 0, v[22:23]
	flat_load_dwordx4 a[8:11], v[22:23]
	v_mov_b32_e32 v24, v208
	;;#ASMSTART
	v_cvt_off_f32_i4 v25, v24
v_cvt_off_f32_i4 v26, v24, src0_sel:BYTE_2
v_cvt_pk_fp8_f32 v22, v25, v26
v_cvt_off_f32_i4 v25, v24, src0_sel:BYTE_1
v_cvt_off_f32_i4 v26, v24, src0_sel:BYTE_3
v_cvt_pk_fp8_f32 v23, v25, v26
v_lshrrev_b32 v27, 4, v24
v_cvt_off_f32_i4 v25, v27
v_cvt_off_f32_i4 v26, v27, src0_sel:BYTE_2
v_cvt_pk_fp8_f32 v22, v25, v26, op_sel:[0, 0, 1]
v_cvt_off_f32_i4 v25, v27, src0_sel:BYTE_1
v_cvt_off_f32_i4 v26, v27, src0_sel:BYTE_3
v_cvt_pk_fp8_f32 v23, v25, v26, op_sel:[0, 0, 1]

	;;#ASMEND
	s_nop 0
	v_mov_b32_e32 v26, v209
	;;#ASMSTART
	v_cvt_off_f32_i4 v27, v26
v_cvt_off_f32_i4 v28, v26, src0_sel:BYTE_2
v_cvt_pk_fp8_f32 v24, v27, v28
v_cvt_off_f32_i4 v27, v26, src0_sel:BYTE_1
v_cvt_off_f32_i4 v28, v26, src0_sel:BYTE_3
v_cvt_pk_fp8_f32 v25, v27, v28
v_lshrrev_b32 v29, 4, v26
v_cvt_off_f32_i4 v27, v29
v_cvt_off_f32_i4 v28, v29, src0_sel:BYTE_2
v_cvt_pk_fp8_f32 v24, v27, v28, op_sel:[0, 0, 1]
v_cvt_off_f32_i4 v27, v29, src0_sel:BYTE_1
v_cvt_off_f32_i4 v28, v29, src0_sel:BYTE_3
v_cvt_pk_fp8_f32 v25, v27, v28, op_sel:[0, 0, 1]

	;;#ASMEND
	s_nop 0
	;; [unrolled: 18-line block ×31, first 2 shown]
	v_mov_b32_e32 v38, v47
	;;#ASMSTART
	v_cvt_off_f32_i4 v39, v38
v_cvt_off_f32_i4 v56, v38, src0_sel:BYTE_2
v_cvt_pk_fp8_f32 v134, v39, v56
v_cvt_off_f32_i4 v39, v38, src0_sel:BYTE_1
v_cvt_off_f32_i4 v56, v38, src0_sel:BYTE_3
v_cvt_pk_fp8_f32 v135, v39, v56
v_lshrrev_b32 v57, 4, v38
v_cvt_off_f32_i4 v39, v57
v_cvt_off_f32_i4 v56, v57, src0_sel:BYTE_2
v_cvt_pk_fp8_f32 v134, v39, v56, op_sel:[0, 0, 1]
v_cvt_off_f32_i4 v39, v57, src0_sel:BYTE_1
v_cvt_off_f32_i4 v56, v57, src0_sel:BYTE_3
v_cvt_pk_fp8_f32 v135, v39, v56, op_sel:[0, 0, 1]

	;;#ASMEND
	; sched_barrier mask(0x00000000)
	flat_load_dwordx4 a[0:3], v[20:21] offset:768
	s_waitcnt vmcnt(0) lgkmcnt(0)
	v_mfma_f32_16x16x128_f8f6f4 a[0:3], a[4:11], v[22:29], a[0:3]
	s_nop 11
	flat_store_dwordx4 v[20:21], a[0:3] offset:768
	flat_load_dwordx4 a[0:3], v[20:21] offset:784
	s_waitcnt vmcnt(0) lgkmcnt(0)
	v_mfma_f32_16x16x128_f8f6f4 a[0:3], a[4:11], v[30:37], a[0:3]
	s_nop 11
	flat_store_dwordx4 v[20:21], a[0:3] offset:784
	;; [unrolled: 5-line block ×3, first 2 shown]
	flat_load_dwordx4 a[0:3], v[20:21] offset:816
	s_waitcnt vmcnt(0) lgkmcnt(0)
	v_mfma_f32_16x16x128_f8f6f4 a[0:3], a[4:11], v[64:71], a[0:3]
	; sched_group_barrier mask(0x00000008) size(4) SyncID(0)
	; sched_group_barrier mask(0x00000100) size(1) SyncID(0)
	s_nop 11
	flat_store_dwordx4 v[20:21], a[0:3] offset:816
	flat_load_dwordx4 a[0:3], v[20:21] offset:832
	s_waitcnt vmcnt(0) lgkmcnt(0)
	v_mfma_f32_16x16x128_f8f6f4 a[0:3], a[4:11], v[80:87], a[0:3]
	s_nop 11
	flat_store_dwordx4 v[20:21], a[0:3] offset:832
	flat_load_dwordx4 a[0:3], v[20:21] offset:848
	s_waitcnt vmcnt(0) lgkmcnt(0)
	v_mfma_f32_16x16x128_f8f6f4 a[0:3], a[4:11], v[96:103], a[0:3]
	;; [unrolled: 5-line block ×4, first 2 shown]
	; sched_group_barrier mask(0x00000008) size(4) SyncID(0)
	; sched_group_barrier mask(0x00000100) size(1) SyncID(0)
	s_nop 11
	flat_store_dwordx4 v[20:21], a[0:3] offset:880
	flat_load_dwordx2 v[30:31], v[0:1] offset:1148
	flat_load_dwordx2 v[32:33], v[0:1] offset:1164
	flat_load_dwordx4 v[22:25], v[0:1] offset:1176
	flat_load_dwordx3 v[26:28], v[0:1] offset:1132
	flat_load_dwordx2 v[34:35], v[8:9] offset:16
	s_waitcnt vmcnt(0) lgkmcnt(0)
	v_sub_u32_e32 v29, v30, v33
	v_add3_u32 v23, v29, v23, s23
	v_ashrrev_i32_e32 v30, 31, v23
	v_lshrrev_b32_e32 v30, 29, v30
	v_add_u32_e32 v30, v23, v30
	v_and_b32_e32 v30, -8, v30
	v_sub_u32_e32 v29, v31, v32
	v_sub_u32_e32 v30, v23, v30
	v_xor_b32_e32 v29, v30, v29
	v_sub_u32_e32 v23, v23, v28
	v_sub_u32_e32 v28, v29, v27
	v_lshl_add_u32 v23, v23, 7, v26
	v_add_u32_e32 v25, 16, v25
	v_lshl_add_u32 v28, v28, 4, v23
	v_ashrrev_i32_e32 v26, 31, v25
	v_ashrrev_i32_e32 v29, 31, v28
	v_lshrrev_b32_e32 v26, 28, v26
	v_lshl_add_u64 v[28:29], v[34:35], 0, v[28:29]
	v_add_u32_e32 v26, v25, v26
	v_add_u32_e32 v22, v32, v22
	flat_load_dwordx4 a[32:35], v[28:29]
	v_lshrrev_b32_e32 v28, 4, v26
	v_sub_u32_e32 v22, v31, v22
	v_add_u32_e32 v22, v22, v28
	v_xor_b32_e32 v22, v22, v30
	v_and_b32_e32 v26, -16, v26
	v_sub_u32_e32 v22, v22, v27
	v_sub_u32_e32 v25, v25, v26
	v_lshlrev_b32_e32 v22, 4, v22
	v_sub_u32_e32 v23, v23, v24
	v_add3_u32 v22, v23, v25, v22
	v_ashrrev_i32_e32 v23, 31, v22
	v_lshl_add_u64 v[22:23], v[34:35], 0, v[22:23]
	flat_load_dwordx4 a[36:39], v[22:23]
	;;#ASMSTART
	v_cvt_off_f32_i4 v24, v208
v_cvt_off_f32_i4 v25, v208, src0_sel:BYTE_2
v_cvt_pk_fp8_f32 v22, v24, v25
v_cvt_off_f32_i4 v24, v208, src0_sel:BYTE_1
v_cvt_off_f32_i4 v25, v208, src0_sel:BYTE_3
v_cvt_pk_fp8_f32 v23, v24, v25
v_lshrrev_b32 v26, 4, v208
v_cvt_off_f32_i4 v24, v26
v_cvt_off_f32_i4 v25, v26, src0_sel:BYTE_2
v_cvt_pk_fp8_f32 v22, v24, v25, op_sel:[0, 0, 1]
v_cvt_off_f32_i4 v24, v26, src0_sel:BYTE_1
v_cvt_off_f32_i4 v25, v26, src0_sel:BYTE_3
v_cvt_pk_fp8_f32 v23, v24, v25, op_sel:[0, 0, 1]

	;;#ASMEND
	s_nop 0
	;;#ASMSTART
	v_cvt_off_f32_i4 v26, v209
v_cvt_off_f32_i4 v27, v209, src0_sel:BYTE_2
v_cvt_pk_fp8_f32 v24, v26, v27
v_cvt_off_f32_i4 v26, v209, src0_sel:BYTE_1
v_cvt_off_f32_i4 v27, v209, src0_sel:BYTE_3
v_cvt_pk_fp8_f32 v25, v26, v27
v_lshrrev_b32 v28, 4, v209
v_cvt_off_f32_i4 v26, v28
v_cvt_off_f32_i4 v27, v28, src0_sel:BYTE_2
v_cvt_pk_fp8_f32 v24, v26, v27, op_sel:[0, 0, 1]
v_cvt_off_f32_i4 v26, v28, src0_sel:BYTE_1
v_cvt_off_f32_i4 v27, v28, src0_sel:BYTE_3
v_cvt_pk_fp8_f32 v25, v26, v27, op_sel:[0, 0, 1]

	;;#ASMEND
	s_nop 0
	;;#ASMSTART
	v_cvt_off_f32_i4 v28, v210
v_cvt_off_f32_i4 v29, v210, src0_sel:BYTE_2
v_cvt_pk_fp8_f32 v26, v28, v29
v_cvt_off_f32_i4 v28, v210, src0_sel:BYTE_1
v_cvt_off_f32_i4 v29, v210, src0_sel:BYTE_3
v_cvt_pk_fp8_f32 v27, v28, v29
v_lshrrev_b32 v30, 4, v210
v_cvt_off_f32_i4 v28, v30
v_cvt_off_f32_i4 v29, v30, src0_sel:BYTE_2
v_cvt_pk_fp8_f32 v26, v28, v29, op_sel:[0, 0, 1]
v_cvt_off_f32_i4 v28, v30, src0_sel:BYTE_1
v_cvt_off_f32_i4 v29, v30, src0_sel:BYTE_3
v_cvt_pk_fp8_f32 v27, v28, v29, op_sel:[0, 0, 1]

	;;#ASMEND
	s_nop 0
	;;#ASMSTART
	v_cvt_off_f32_i4 v30, v211
v_cvt_off_f32_i4 v31, v211, src0_sel:BYTE_2
v_cvt_pk_fp8_f32 v28, v30, v31
v_cvt_off_f32_i4 v30, v211, src0_sel:BYTE_1
v_cvt_off_f32_i4 v31, v211, src0_sel:BYTE_3
v_cvt_pk_fp8_f32 v29, v30, v31
v_lshrrev_b32 v32, 4, v211
v_cvt_off_f32_i4 v30, v32
v_cvt_off_f32_i4 v31, v32, src0_sel:BYTE_2
v_cvt_pk_fp8_f32 v28, v30, v31, op_sel:[0, 0, 1]
v_cvt_off_f32_i4 v30, v32, src0_sel:BYTE_1
v_cvt_off_f32_i4 v31, v32, src0_sel:BYTE_3
v_cvt_pk_fp8_f32 v29, v30, v31, op_sel:[0, 0, 1]

	;;#ASMEND
	s_nop 0
	;;#ASMSTART
	v_cvt_off_f32_i4 v32, v212
v_cvt_off_f32_i4 v33, v212, src0_sel:BYTE_2
v_cvt_pk_fp8_f32 v30, v32, v33
v_cvt_off_f32_i4 v32, v212, src0_sel:BYTE_1
v_cvt_off_f32_i4 v33, v212, src0_sel:BYTE_3
v_cvt_pk_fp8_f32 v31, v32, v33
v_lshrrev_b32 v34, 4, v212
v_cvt_off_f32_i4 v32, v34
v_cvt_off_f32_i4 v33, v34, src0_sel:BYTE_2
v_cvt_pk_fp8_f32 v30, v32, v33, op_sel:[0, 0, 1]
v_cvt_off_f32_i4 v32, v34, src0_sel:BYTE_1
v_cvt_off_f32_i4 v33, v34, src0_sel:BYTE_3
v_cvt_pk_fp8_f32 v31, v32, v33, op_sel:[0, 0, 1]

	;;#ASMEND
	s_nop 0
	;;#ASMSTART
	v_cvt_off_f32_i4 v34, v213
v_cvt_off_f32_i4 v35, v213, src0_sel:BYTE_2
v_cvt_pk_fp8_f32 v32, v34, v35
v_cvt_off_f32_i4 v34, v213, src0_sel:BYTE_1
v_cvt_off_f32_i4 v35, v213, src0_sel:BYTE_3
v_cvt_pk_fp8_f32 v33, v34, v35
v_lshrrev_b32 v36, 4, v213
v_cvt_off_f32_i4 v34, v36
v_cvt_off_f32_i4 v35, v36, src0_sel:BYTE_2
v_cvt_pk_fp8_f32 v32, v34, v35, op_sel:[0, 0, 1]
v_cvt_off_f32_i4 v34, v36, src0_sel:BYTE_1
v_cvt_off_f32_i4 v35, v36, src0_sel:BYTE_3
v_cvt_pk_fp8_f32 v33, v34, v35, op_sel:[0, 0, 1]

	;;#ASMEND
	s_nop 0
	;;#ASMSTART
	v_cvt_off_f32_i4 v36, v214
v_cvt_off_f32_i4 v37, v214, src0_sel:BYTE_2
v_cvt_pk_fp8_f32 v34, v36, v37
v_cvt_off_f32_i4 v36, v214, src0_sel:BYTE_1
v_cvt_off_f32_i4 v37, v214, src0_sel:BYTE_3
v_cvt_pk_fp8_f32 v35, v36, v37
v_lshrrev_b32 v38, 4, v214
v_cvt_off_f32_i4 v36, v38
v_cvt_off_f32_i4 v37, v38, src0_sel:BYTE_2
v_cvt_pk_fp8_f32 v34, v36, v37, op_sel:[0, 0, 1]
v_cvt_off_f32_i4 v36, v38, src0_sel:BYTE_1
v_cvt_off_f32_i4 v37, v38, src0_sel:BYTE_3
v_cvt_pk_fp8_f32 v35, v36, v37, op_sel:[0, 0, 1]

	;;#ASMEND
	s_nop 0
	;;#ASMSTART
	v_cvt_off_f32_i4 v38, v215
v_cvt_off_f32_i4 v39, v215, src0_sel:BYTE_2
v_cvt_pk_fp8_f32 v36, v38, v39
v_cvt_off_f32_i4 v38, v215, src0_sel:BYTE_1
v_cvt_off_f32_i4 v39, v215, src0_sel:BYTE_3
v_cvt_pk_fp8_f32 v37, v38, v39
v_lshrrev_b32 v48, 4, v215
v_cvt_off_f32_i4 v38, v48
v_cvt_off_f32_i4 v39, v48, src0_sel:BYTE_2
v_cvt_pk_fp8_f32 v36, v38, v39, op_sel:[0, 0, 1]
v_cvt_off_f32_i4 v38, v48, src0_sel:BYTE_1
v_cvt_off_f32_i4 v39, v48, src0_sel:BYTE_3
v_cvt_pk_fp8_f32 v37, v38, v39, op_sel:[0, 0, 1]

	;;#ASMEND
	s_nop 0
	;;#ASMSTART
	v_cvt_off_f32_i4 v38, v224
v_cvt_off_f32_i4 v39, v224, src0_sel:BYTE_2
v_cvt_pk_fp8_f32 v48, v38, v39
v_cvt_off_f32_i4 v38, v224, src0_sel:BYTE_1
v_cvt_off_f32_i4 v39, v224, src0_sel:BYTE_3
v_cvt_pk_fp8_f32 v49, v38, v39
v_lshrrev_b32 v50, 4, v224
v_cvt_off_f32_i4 v38, v50
v_cvt_off_f32_i4 v39, v50, src0_sel:BYTE_2
v_cvt_pk_fp8_f32 v48, v38, v39, op_sel:[0, 0, 1]
v_cvt_off_f32_i4 v38, v50, src0_sel:BYTE_1
v_cvt_off_f32_i4 v39, v50, src0_sel:BYTE_3
v_cvt_pk_fp8_f32 v49, v38, v39, op_sel:[0, 0, 1]

	;;#ASMEND
	s_nop 0
	;;#ASMSTART
	v_cvt_off_f32_i4 v38, v225
v_cvt_off_f32_i4 v39, v225, src0_sel:BYTE_2
v_cvt_pk_fp8_f32 v50, v38, v39
v_cvt_off_f32_i4 v38, v225, src0_sel:BYTE_1
v_cvt_off_f32_i4 v39, v225, src0_sel:BYTE_3
v_cvt_pk_fp8_f32 v51, v38, v39
v_lshrrev_b32 v52, 4, v225
v_cvt_off_f32_i4 v38, v52
v_cvt_off_f32_i4 v39, v52, src0_sel:BYTE_2
v_cvt_pk_fp8_f32 v50, v38, v39, op_sel:[0, 0, 1]
v_cvt_off_f32_i4 v38, v52, src0_sel:BYTE_1
v_cvt_off_f32_i4 v39, v52, src0_sel:BYTE_3
v_cvt_pk_fp8_f32 v51, v38, v39, op_sel:[0, 0, 1]

	;;#ASMEND
	s_nop 0
	;;#ASMSTART
	v_cvt_off_f32_i4 v38, v226
v_cvt_off_f32_i4 v39, v226, src0_sel:BYTE_2
v_cvt_pk_fp8_f32 v52, v38, v39
v_cvt_off_f32_i4 v38, v226, src0_sel:BYTE_1
v_cvt_off_f32_i4 v39, v226, src0_sel:BYTE_3
v_cvt_pk_fp8_f32 v53, v38, v39
v_lshrrev_b32 v54, 4, v226
v_cvt_off_f32_i4 v38, v54
v_cvt_off_f32_i4 v39, v54, src0_sel:BYTE_2
v_cvt_pk_fp8_f32 v52, v38, v39, op_sel:[0, 0, 1]
v_cvt_off_f32_i4 v38, v54, src0_sel:BYTE_1
v_cvt_off_f32_i4 v39, v54, src0_sel:BYTE_3
v_cvt_pk_fp8_f32 v53, v38, v39, op_sel:[0, 0, 1]

	;;#ASMEND
	s_nop 0
	;;#ASMSTART
	v_cvt_off_f32_i4 v38, v227
v_cvt_off_f32_i4 v39, v227, src0_sel:BYTE_2
v_cvt_pk_fp8_f32 v54, v38, v39
v_cvt_off_f32_i4 v38, v227, src0_sel:BYTE_1
v_cvt_off_f32_i4 v39, v227, src0_sel:BYTE_3
v_cvt_pk_fp8_f32 v55, v38, v39
v_lshrrev_b32 v64, 4, v227
v_cvt_off_f32_i4 v38, v64
v_cvt_off_f32_i4 v39, v64, src0_sel:BYTE_2
v_cvt_pk_fp8_f32 v54, v38, v39, op_sel:[0, 0, 1]
v_cvt_off_f32_i4 v38, v64, src0_sel:BYTE_1
v_cvt_off_f32_i4 v39, v64, src0_sel:BYTE_3
v_cvt_pk_fp8_f32 v55, v38, v39, op_sel:[0, 0, 1]

	;;#ASMEND
	s_nop 0
	;;#ASMSTART
	v_cvt_off_f32_i4 v38, v228
v_cvt_off_f32_i4 v39, v228, src0_sel:BYTE_2
v_cvt_pk_fp8_f32 v64, v38, v39
v_cvt_off_f32_i4 v38, v228, src0_sel:BYTE_1
v_cvt_off_f32_i4 v39, v228, src0_sel:BYTE_3
v_cvt_pk_fp8_f32 v65, v38, v39
v_lshrrev_b32 v66, 4, v228
v_cvt_off_f32_i4 v38, v66
v_cvt_off_f32_i4 v39, v66, src0_sel:BYTE_2
v_cvt_pk_fp8_f32 v64, v38, v39, op_sel:[0, 0, 1]
v_cvt_off_f32_i4 v38, v66, src0_sel:BYTE_1
v_cvt_off_f32_i4 v39, v66, src0_sel:BYTE_3
v_cvt_pk_fp8_f32 v65, v38, v39, op_sel:[0, 0, 1]

	;;#ASMEND
	s_nop 0
	;;#ASMSTART
	v_cvt_off_f32_i4 v38, v229
v_cvt_off_f32_i4 v39, v229, src0_sel:BYTE_2
v_cvt_pk_fp8_f32 v66, v38, v39
v_cvt_off_f32_i4 v38, v229, src0_sel:BYTE_1
v_cvt_off_f32_i4 v39, v229, src0_sel:BYTE_3
v_cvt_pk_fp8_f32 v67, v38, v39
v_lshrrev_b32 v68, 4, v229
v_cvt_off_f32_i4 v38, v68
v_cvt_off_f32_i4 v39, v68, src0_sel:BYTE_2
v_cvt_pk_fp8_f32 v66, v38, v39, op_sel:[0, 0, 1]
v_cvt_off_f32_i4 v38, v68, src0_sel:BYTE_1
v_cvt_off_f32_i4 v39, v68, src0_sel:BYTE_3
v_cvt_pk_fp8_f32 v67, v38, v39, op_sel:[0, 0, 1]

	;;#ASMEND
	s_nop 0
	;;#ASMSTART
	v_cvt_off_f32_i4 v38, v230
v_cvt_off_f32_i4 v39, v230, src0_sel:BYTE_2
v_cvt_pk_fp8_f32 v68, v38, v39
v_cvt_off_f32_i4 v38, v230, src0_sel:BYTE_1
v_cvt_off_f32_i4 v39, v230, src0_sel:BYTE_3
v_cvt_pk_fp8_f32 v69, v38, v39
v_lshrrev_b32 v70, 4, v230
v_cvt_off_f32_i4 v38, v70
v_cvt_off_f32_i4 v39, v70, src0_sel:BYTE_2
v_cvt_pk_fp8_f32 v68, v38, v39, op_sel:[0, 0, 1]
v_cvt_off_f32_i4 v38, v70, src0_sel:BYTE_1
v_cvt_off_f32_i4 v39, v70, src0_sel:BYTE_3
v_cvt_pk_fp8_f32 v69, v38, v39, op_sel:[0, 0, 1]

	;;#ASMEND
	s_nop 0
	;;#ASMSTART
	v_cvt_off_f32_i4 v38, v231
v_cvt_off_f32_i4 v39, v231, src0_sel:BYTE_2
v_cvt_pk_fp8_f32 v70, v38, v39
v_cvt_off_f32_i4 v38, v231, src0_sel:BYTE_1
v_cvt_off_f32_i4 v39, v231, src0_sel:BYTE_3
v_cvt_pk_fp8_f32 v71, v38, v39
v_lshrrev_b32 v80, 4, v231
v_cvt_off_f32_i4 v38, v80
v_cvt_off_f32_i4 v39, v80, src0_sel:BYTE_2
v_cvt_pk_fp8_f32 v70, v38, v39, op_sel:[0, 0, 1]
v_cvt_off_f32_i4 v38, v80, src0_sel:BYTE_1
v_cvt_off_f32_i4 v39, v80, src0_sel:BYTE_3
v_cvt_pk_fp8_f32 v71, v38, v39, op_sel:[0, 0, 1]

	;;#ASMEND
	s_nop 0
	;;#ASMSTART
	v_cvt_off_f32_i4 v38, v240
v_cvt_off_f32_i4 v39, v240, src0_sel:BYTE_2
v_cvt_pk_fp8_f32 v80, v38, v39
v_cvt_off_f32_i4 v38, v240, src0_sel:BYTE_1
v_cvt_off_f32_i4 v39, v240, src0_sel:BYTE_3
v_cvt_pk_fp8_f32 v81, v38, v39
v_lshrrev_b32 v82, 4, v240
v_cvt_off_f32_i4 v38, v82
v_cvt_off_f32_i4 v39, v82, src0_sel:BYTE_2
v_cvt_pk_fp8_f32 v80, v38, v39, op_sel:[0, 0, 1]
v_cvt_off_f32_i4 v38, v82, src0_sel:BYTE_1
v_cvt_off_f32_i4 v39, v82, src0_sel:BYTE_3
v_cvt_pk_fp8_f32 v81, v38, v39, op_sel:[0, 0, 1]

	;;#ASMEND
	s_nop 0
	;;#ASMSTART
	v_cvt_off_f32_i4 v38, v241
v_cvt_off_f32_i4 v39, v241, src0_sel:BYTE_2
v_cvt_pk_fp8_f32 v82, v38, v39
v_cvt_off_f32_i4 v38, v241, src0_sel:BYTE_1
v_cvt_off_f32_i4 v39, v241, src0_sel:BYTE_3
v_cvt_pk_fp8_f32 v83, v38, v39
v_lshrrev_b32 v84, 4, v241
v_cvt_off_f32_i4 v38, v84
v_cvt_off_f32_i4 v39, v84, src0_sel:BYTE_2
v_cvt_pk_fp8_f32 v82, v38, v39, op_sel:[0, 0, 1]
v_cvt_off_f32_i4 v38, v84, src0_sel:BYTE_1
v_cvt_off_f32_i4 v39, v84, src0_sel:BYTE_3
v_cvt_pk_fp8_f32 v83, v38, v39, op_sel:[0, 0, 1]

	;;#ASMEND
	s_nop 0
	;;#ASMSTART
	v_cvt_off_f32_i4 v38, v242
v_cvt_off_f32_i4 v39, v242, src0_sel:BYTE_2
v_cvt_pk_fp8_f32 v84, v38, v39
v_cvt_off_f32_i4 v38, v242, src0_sel:BYTE_1
v_cvt_off_f32_i4 v39, v242, src0_sel:BYTE_3
v_cvt_pk_fp8_f32 v85, v38, v39
v_lshrrev_b32 v86, 4, v242
v_cvt_off_f32_i4 v38, v86
v_cvt_off_f32_i4 v39, v86, src0_sel:BYTE_2
v_cvt_pk_fp8_f32 v84, v38, v39, op_sel:[0, 0, 1]
v_cvt_off_f32_i4 v38, v86, src0_sel:BYTE_1
v_cvt_off_f32_i4 v39, v86, src0_sel:BYTE_3
v_cvt_pk_fp8_f32 v85, v38, v39, op_sel:[0, 0, 1]

	;;#ASMEND
	s_nop 0
	;;#ASMSTART
	v_cvt_off_f32_i4 v38, v243
v_cvt_off_f32_i4 v39, v243, src0_sel:BYTE_2
v_cvt_pk_fp8_f32 v86, v38, v39
v_cvt_off_f32_i4 v38, v243, src0_sel:BYTE_1
v_cvt_off_f32_i4 v39, v243, src0_sel:BYTE_3
v_cvt_pk_fp8_f32 v87, v38, v39
v_lshrrev_b32 v96, 4, v243
v_cvt_off_f32_i4 v38, v96
v_cvt_off_f32_i4 v39, v96, src0_sel:BYTE_2
v_cvt_pk_fp8_f32 v86, v38, v39, op_sel:[0, 0, 1]
v_cvt_off_f32_i4 v38, v96, src0_sel:BYTE_1
v_cvt_off_f32_i4 v39, v96, src0_sel:BYTE_3
v_cvt_pk_fp8_f32 v87, v38, v39, op_sel:[0, 0, 1]

	;;#ASMEND
	s_nop 0
	;;#ASMSTART
	v_cvt_off_f32_i4 v38, v244
v_cvt_off_f32_i4 v39, v244, src0_sel:BYTE_2
v_cvt_pk_fp8_f32 v96, v38, v39
v_cvt_off_f32_i4 v38, v244, src0_sel:BYTE_1
v_cvt_off_f32_i4 v39, v244, src0_sel:BYTE_3
v_cvt_pk_fp8_f32 v97, v38, v39
v_lshrrev_b32 v98, 4, v244
v_cvt_off_f32_i4 v38, v98
v_cvt_off_f32_i4 v39, v98, src0_sel:BYTE_2
v_cvt_pk_fp8_f32 v96, v38, v39, op_sel:[0, 0, 1]
v_cvt_off_f32_i4 v38, v98, src0_sel:BYTE_1
v_cvt_off_f32_i4 v39, v98, src0_sel:BYTE_3
v_cvt_pk_fp8_f32 v97, v38, v39, op_sel:[0, 0, 1]

	;;#ASMEND
	s_nop 0
	;;#ASMSTART
	v_cvt_off_f32_i4 v38, v245
v_cvt_off_f32_i4 v39, v245, src0_sel:BYTE_2
v_cvt_pk_fp8_f32 v98, v38, v39
v_cvt_off_f32_i4 v38, v245, src0_sel:BYTE_1
v_cvt_off_f32_i4 v39, v245, src0_sel:BYTE_3
v_cvt_pk_fp8_f32 v99, v38, v39
v_lshrrev_b32 v100, 4, v245
v_cvt_off_f32_i4 v38, v100
v_cvt_off_f32_i4 v39, v100, src0_sel:BYTE_2
v_cvt_pk_fp8_f32 v98, v38, v39, op_sel:[0, 0, 1]
v_cvt_off_f32_i4 v38, v100, src0_sel:BYTE_1
v_cvt_off_f32_i4 v39, v100, src0_sel:BYTE_3
v_cvt_pk_fp8_f32 v99, v38, v39, op_sel:[0, 0, 1]

	;;#ASMEND
	s_nop 0
	;;#ASMSTART
	v_cvt_off_f32_i4 v38, v246
v_cvt_off_f32_i4 v39, v246, src0_sel:BYTE_2
v_cvt_pk_fp8_f32 v100, v38, v39
v_cvt_off_f32_i4 v38, v246, src0_sel:BYTE_1
v_cvt_off_f32_i4 v39, v246, src0_sel:BYTE_3
v_cvt_pk_fp8_f32 v101, v38, v39
v_lshrrev_b32 v102, 4, v246
v_cvt_off_f32_i4 v38, v102
v_cvt_off_f32_i4 v39, v102, src0_sel:BYTE_2
v_cvt_pk_fp8_f32 v100, v38, v39, op_sel:[0, 0, 1]
v_cvt_off_f32_i4 v38, v102, src0_sel:BYTE_1
v_cvt_off_f32_i4 v39, v102, src0_sel:BYTE_3
v_cvt_pk_fp8_f32 v101, v38, v39, op_sel:[0, 0, 1]

	;;#ASMEND
	s_nop 0
	;;#ASMSTART
	v_cvt_off_f32_i4 v38, v247
v_cvt_off_f32_i4 v39, v247, src0_sel:BYTE_2
v_cvt_pk_fp8_f32 v102, v38, v39
v_cvt_off_f32_i4 v38, v247, src0_sel:BYTE_1
v_cvt_off_f32_i4 v39, v247, src0_sel:BYTE_3
v_cvt_pk_fp8_f32 v103, v38, v39
v_lshrrev_b32 v112, 4, v247
v_cvt_off_f32_i4 v38, v112
v_cvt_off_f32_i4 v39, v112, src0_sel:BYTE_2
v_cvt_pk_fp8_f32 v102, v38, v39, op_sel:[0, 0, 1]
v_cvt_off_f32_i4 v38, v112, src0_sel:BYTE_1
v_cvt_off_f32_i4 v39, v112, src0_sel:BYTE_3
v_cvt_pk_fp8_f32 v103, v38, v39, op_sel:[0, 0, 1]

	;;#ASMEND
	s_nop 0
	;;#ASMSTART
	v_cvt_off_f32_i4 v38, v40
v_cvt_off_f32_i4 v39, v40, src0_sel:BYTE_2
v_cvt_pk_fp8_f32 v112, v38, v39
v_cvt_off_f32_i4 v38, v40, src0_sel:BYTE_1
v_cvt_off_f32_i4 v39, v40, src0_sel:BYTE_3
v_cvt_pk_fp8_f32 v113, v38, v39
v_lshrrev_b32 v114, 4, v40
v_cvt_off_f32_i4 v38, v114
v_cvt_off_f32_i4 v39, v114, src0_sel:BYTE_2
v_cvt_pk_fp8_f32 v112, v38, v39, op_sel:[0, 0, 1]
v_cvt_off_f32_i4 v38, v114, src0_sel:BYTE_1
v_cvt_off_f32_i4 v39, v114, src0_sel:BYTE_3
v_cvt_pk_fp8_f32 v113, v38, v39, op_sel:[0, 0, 1]

	;;#ASMEND
	s_nop 0
	;;#ASMSTART
	v_cvt_off_f32_i4 v38, v41
v_cvt_off_f32_i4 v39, v41, src0_sel:BYTE_2
v_cvt_pk_fp8_f32 v114, v38, v39
v_cvt_off_f32_i4 v38, v41, src0_sel:BYTE_1
v_cvt_off_f32_i4 v39, v41, src0_sel:BYTE_3
v_cvt_pk_fp8_f32 v115, v38, v39
v_lshrrev_b32 v116, 4, v41
v_cvt_off_f32_i4 v38, v116
v_cvt_off_f32_i4 v39, v116, src0_sel:BYTE_2
v_cvt_pk_fp8_f32 v114, v38, v39, op_sel:[0, 0, 1]
v_cvt_off_f32_i4 v38, v116, src0_sel:BYTE_1
v_cvt_off_f32_i4 v39, v116, src0_sel:BYTE_3
v_cvt_pk_fp8_f32 v115, v38, v39, op_sel:[0, 0, 1]

	;;#ASMEND
	s_nop 0
	;;#ASMSTART
	v_cvt_off_f32_i4 v38, v42
v_cvt_off_f32_i4 v39, v42, src0_sel:BYTE_2
v_cvt_pk_fp8_f32 v116, v38, v39
v_cvt_off_f32_i4 v38, v42, src0_sel:BYTE_1
v_cvt_off_f32_i4 v39, v42, src0_sel:BYTE_3
v_cvt_pk_fp8_f32 v117, v38, v39
v_lshrrev_b32 v118, 4, v42
v_cvt_off_f32_i4 v38, v118
v_cvt_off_f32_i4 v39, v118, src0_sel:BYTE_2
v_cvt_pk_fp8_f32 v116, v38, v39, op_sel:[0, 0, 1]
v_cvt_off_f32_i4 v38, v118, src0_sel:BYTE_1
v_cvt_off_f32_i4 v39, v118, src0_sel:BYTE_3
v_cvt_pk_fp8_f32 v117, v38, v39, op_sel:[0, 0, 1]

	;;#ASMEND
	s_nop 0
	;;#ASMSTART
	v_cvt_off_f32_i4 v38, v43
v_cvt_off_f32_i4 v39, v43, src0_sel:BYTE_2
v_cvt_pk_fp8_f32 v118, v38, v39
v_cvt_off_f32_i4 v38, v43, src0_sel:BYTE_1
v_cvt_off_f32_i4 v39, v43, src0_sel:BYTE_3
v_cvt_pk_fp8_f32 v119, v38, v39
v_lshrrev_b32 v128, 4, v43
v_cvt_off_f32_i4 v38, v128
v_cvt_off_f32_i4 v39, v128, src0_sel:BYTE_2
v_cvt_pk_fp8_f32 v118, v38, v39, op_sel:[0, 0, 1]
v_cvt_off_f32_i4 v38, v128, src0_sel:BYTE_1
v_cvt_off_f32_i4 v39, v128, src0_sel:BYTE_3
v_cvt_pk_fp8_f32 v119, v38, v39, op_sel:[0, 0, 1]

	;;#ASMEND
	s_nop 0
	;;#ASMSTART
	v_cvt_off_f32_i4 v38, v44
v_cvt_off_f32_i4 v39, v44, src0_sel:BYTE_2
v_cvt_pk_fp8_f32 v128, v38, v39
v_cvt_off_f32_i4 v38, v44, src0_sel:BYTE_1
v_cvt_off_f32_i4 v39, v44, src0_sel:BYTE_3
v_cvt_pk_fp8_f32 v129, v38, v39
v_lshrrev_b32 v130, 4, v44
v_cvt_off_f32_i4 v38, v130
v_cvt_off_f32_i4 v39, v130, src0_sel:BYTE_2
v_cvt_pk_fp8_f32 v128, v38, v39, op_sel:[0, 0, 1]
v_cvt_off_f32_i4 v38, v130, src0_sel:BYTE_1
v_cvt_off_f32_i4 v39, v130, src0_sel:BYTE_3
v_cvt_pk_fp8_f32 v129, v38, v39, op_sel:[0, 0, 1]

	;;#ASMEND
	s_nop 0
	;;#ASMSTART
	v_cvt_off_f32_i4 v38, v45
v_cvt_off_f32_i4 v39, v45, src0_sel:BYTE_2
v_cvt_pk_fp8_f32 v130, v38, v39
v_cvt_off_f32_i4 v38, v45, src0_sel:BYTE_1
v_cvt_off_f32_i4 v39, v45, src0_sel:BYTE_3
v_cvt_pk_fp8_f32 v131, v38, v39
v_lshrrev_b32 v132, 4, v45
v_cvt_off_f32_i4 v38, v132
v_cvt_off_f32_i4 v39, v132, src0_sel:BYTE_2
v_cvt_pk_fp8_f32 v130, v38, v39, op_sel:[0, 0, 1]
v_cvt_off_f32_i4 v38, v132, src0_sel:BYTE_1
v_cvt_off_f32_i4 v39, v132, src0_sel:BYTE_3
v_cvt_pk_fp8_f32 v131, v38, v39, op_sel:[0, 0, 1]

	;;#ASMEND
	s_nop 0
	;;#ASMSTART
	v_cvt_off_f32_i4 v38, v46
v_cvt_off_f32_i4 v39, v46, src0_sel:BYTE_2
v_cvt_pk_fp8_f32 v132, v38, v39
v_cvt_off_f32_i4 v38, v46, src0_sel:BYTE_1
v_cvt_off_f32_i4 v39, v46, src0_sel:BYTE_3
v_cvt_pk_fp8_f32 v133, v38, v39
v_lshrrev_b32 v134, 4, v46
v_cvt_off_f32_i4 v38, v134
v_cvt_off_f32_i4 v39, v134, src0_sel:BYTE_2
v_cvt_pk_fp8_f32 v132, v38, v39, op_sel:[0, 0, 1]
v_cvt_off_f32_i4 v38, v134, src0_sel:BYTE_1
v_cvt_off_f32_i4 v39, v134, src0_sel:BYTE_3
v_cvt_pk_fp8_f32 v133, v38, v39, op_sel:[0, 0, 1]

	;;#ASMEND
	s_nop 0
	;;#ASMSTART
	v_cvt_off_f32_i4 v38, v47
v_cvt_off_f32_i4 v39, v47, src0_sel:BYTE_2
v_cvt_pk_fp8_f32 v134, v38, v39
v_cvt_off_f32_i4 v38, v47, src0_sel:BYTE_1
v_cvt_off_f32_i4 v39, v47, src0_sel:BYTE_3
v_cvt_pk_fp8_f32 v135, v38, v39
v_lshrrev_b32 v208, 4, v47
v_cvt_off_f32_i4 v38, v208
v_cvt_off_f32_i4 v39, v208, src0_sel:BYTE_2
v_cvt_pk_fp8_f32 v134, v38, v39, op_sel:[0, 0, 1]
v_cvt_off_f32_i4 v38, v208, src0_sel:BYTE_1
v_cvt_off_f32_i4 v39, v208, src0_sel:BYTE_3
v_cvt_pk_fp8_f32 v135, v38, v39, op_sel:[0, 0, 1]

	;;#ASMEND
	; sched_barrier mask(0x00000000)
	flat_load_dwordx4 a[0:3], v[20:21] offset:896
	flat_load_dwordx4 a[4:7], v[20:21] offset:912
	;; [unrolled: 1-line block ×8, first 2 shown]
	v_perm_b32 v60, v183, v183, s16
	v_perm_b32 v61, v179, v179, s16
	;; [unrolled: 1-line block ×6, first 2 shown]
	s_waitcnt vmcnt(0) lgkmcnt(0)
	v_mfma_f32_16x16x128_f8f6f4 a[0:3], a[32:39], v[22:29], a[0:3]
	s_nop 11
	flat_store_dwordx4 v[20:21], a[0:3] offset:896
	v_mfma_f32_16x16x128_f8f6f4 a[4:7], a[32:39], v[30:37], a[4:7]
	v_mfma_f32_16x16x128_f8f6f4 a[8:11], a[32:39], v[48:55], a[8:11]
	s_nop 10
	flat_store_dwordx4 v[20:21], a[4:7] offset:912
	v_mfma_f32_16x16x128_f8f6f4 a[12:15], a[32:39], v[64:71], a[12:15]
	; sched_group_barrier mask(0x00000008) size(4) SyncID(0)
	; sched_group_barrier mask(0x00000100) size(1) SyncID(0)
	flat_store_dwordx4 v[20:21], a[8:11] offset:928
	v_mfma_f32_16x16x128_f8f6f4 a[16:19], a[32:39], v[80:87], a[16:19]
	s_nop 9
	flat_store_dwordx4 v[20:21], a[12:15] offset:944
	v_mfma_f32_16x16x128_f8f6f4 a[20:23], a[32:39], v[96:103], a[20:23]
	flat_store_dwordx4 v[20:21], a[16:19] offset:960
	v_mfma_f32_16x16x128_f8f6f4 a[24:27], a[32:39], v[112:119], a[24:27]
	s_nop 9
	flat_store_dwordx4 v[20:21], a[20:23] offset:976
	v_mfma_f32_16x16x128_f8f6f4 a[28:31], a[32:39], v[128:135], a[28:31]
	; sched_group_barrier mask(0x00000008) size(4) SyncID(0)
	; sched_group_barrier mask(0x00000100) size(1) SyncID(0)
	flat_store_dwordx4 v[20:21], a[24:27] offset:992
	s_nop 10
	flat_store_dwordx4 v[20:21], a[28:31] offset:1008
	s_waitcnt lgkmcnt(0)
	s_barrier
	flat_load_dwordx4 v[22:25], v[0:1] offset:1152
	flat_load_dwordx3 v[26:28], v[0:1] offset:1132
	s_waitcnt vmcnt(0) lgkmcnt(0)
	flat_load_dwordx2 v[24:25], v[0:1] offset:1184
	flat_load_dword v29, v[0:1] offset:1176
	s_waitcnt vmcnt(0) lgkmcnt(0)
	flat_load_dword v24, v[0:1] offset:1148
	flat_load_dwordx2 v[30:31], v[8:9]
	flat_load_dword v34, v[0:1] offset:1184
	v_ashrrev_i32_e32 v33, 31, v26
	v_mov_b32_e32 v32, v26
	v_add_u32_e32 v25, 16, v25
	v_sub_u32_e32 v29, v22, v29
	s_waitcnt vmcnt(0) lgkmcnt(0)
	v_ashrrev_i32_e32 v35, 31, v24
	v_lshl_add_u64 v[22:23], v[30:31], 0, v[32:33]
	v_ashrrev_i32_e32 v32, 31, v25
	v_lshrrev_b32_e32 v33, 29, v35
	flat_load_dwordx4 a[0:3], v[22:23]
	v_lshrrev_b32_e32 v22, 28, v32
	v_sub_u32_e32 v28, v24, v28
	v_add_u32_e32 v23, v24, v33
	v_add_u32_e32 v22, v25, v22
	v_lshl_add_u32 v26, v28, 7, v26
	v_and_b32_e32 v23, 0xffffff8, v23
	v_lshrrev_b32_e32 v28, 4, v22
	v_sub_u32_e32 v23, v24, v23
	v_add_u32_e32 v24, v29, v28
	v_xor_b32_e32 v23, v24, v23
	v_and_b32_e32 v22, -16, v22
	v_sub_u32_e32 v23, v23, v27
	v_sub_u32_e32 v22, v25, v22
	v_lshlrev_b32_e32 v23, 4, v23
	v_sub_u32_e32 v24, v26, v34
	v_add3_u32 v22, v24, v22, v23
	v_ashrrev_i32_e32 v23, 31, v22
	v_lshl_add_u64 v[22:23], v[30:31], 0, v[22:23]
	flat_load_dwordx4 a[4:7], v[22:23]
	v_mov_b32_e32 v23, v196
	;;#ASMSTART
	v_cvt_off_f32_i4 v24, v23
v_cvt_off_f32_i4 v25, v23, src0_sel:BYTE_2
v_cvt_pk_fp8_f32 v32, v24, v25
v_cvt_off_f32_i4 v24, v23, src0_sel:BYTE_1
v_cvt_off_f32_i4 v25, v23, src0_sel:BYTE_3
v_cvt_pk_fp8_f32 v33, v24, v25
v_lshrrev_b32 v26, 4, v23
v_cvt_off_f32_i4 v24, v26
v_cvt_off_f32_i4 v25, v26, src0_sel:BYTE_2
v_cvt_pk_fp8_f32 v32, v24, v25, op_sel:[0, 0, 1]
v_cvt_off_f32_i4 v24, v26, src0_sel:BYTE_1
v_cvt_off_f32_i4 v25, v26, src0_sel:BYTE_3
v_cvt_pk_fp8_f32 v33, v24, v25, op_sel:[0, 0, 1]

	;;#ASMEND
	v_perm_b32 v22, v199, v199, s16
	v_mov_b32_e32 v23, v197
	;;#ASMSTART
	v_cvt_off_f32_i4 v24, v23
v_cvt_off_f32_i4 v25, v23, src0_sel:BYTE_2
v_cvt_pk_fp8_f32 v34, v24, v25
v_cvt_off_f32_i4 v24, v23, src0_sel:BYTE_1
v_cvt_off_f32_i4 v25, v23, src0_sel:BYTE_3
v_cvt_pk_fp8_f32 v35, v24, v25
v_lshrrev_b32 v26, 4, v23
v_cvt_off_f32_i4 v24, v26
v_cvt_off_f32_i4 v25, v26, src0_sel:BYTE_2
v_cvt_pk_fp8_f32 v34, v24, v25, op_sel:[0, 0, 1]
v_cvt_off_f32_i4 v24, v26, src0_sel:BYTE_1
v_cvt_off_f32_i4 v25, v26, src0_sel:BYTE_3
v_cvt_pk_fp8_f32 v35, v24, v25, op_sel:[0, 0, 1]

	;;#ASMEND
	s_nop 0
	v_mov_b32_e32 v23, v198
	;;#ASMSTART
	v_cvt_off_f32_i4 v24, v23
v_cvt_off_f32_i4 v25, v23, src0_sel:BYTE_2
v_cvt_pk_fp8_f32 v36, v24, v25
v_cvt_off_f32_i4 v24, v23, src0_sel:BYTE_1
v_cvt_off_f32_i4 v25, v23, src0_sel:BYTE_3
v_cvt_pk_fp8_f32 v37, v24, v25
v_lshrrev_b32 v26, 4, v23
v_cvt_off_f32_i4 v24, v26
v_cvt_off_f32_i4 v25, v26, src0_sel:BYTE_2
v_cvt_pk_fp8_f32 v36, v24, v25, op_sel:[0, 0, 1]
v_cvt_off_f32_i4 v24, v26, src0_sel:BYTE_1
v_cvt_off_f32_i4 v25, v26, src0_sel:BYTE_3
v_cvt_pk_fp8_f32 v37, v24, v25, op_sel:[0, 0, 1]

	;;#ASMEND
	s_nop 0
	;; [unrolled: 18-line block ×3, first 2 shown]
	v_mov_b32_e32 v24, v192
	;;#ASMSTART
	v_cvt_off_f32_i4 v25, v24
v_cvt_off_f32_i4 v26, v24, src0_sel:BYTE_2
v_cvt_pk_fp8_f32 v48, v25, v26
v_cvt_off_f32_i4 v25, v24, src0_sel:BYTE_1
v_cvt_off_f32_i4 v26, v24, src0_sel:BYTE_3
v_cvt_pk_fp8_f32 v49, v25, v26
v_lshrrev_b32 v27, 4, v24
v_cvt_off_f32_i4 v25, v27
v_cvt_off_f32_i4 v26, v27, src0_sel:BYTE_2
v_cvt_pk_fp8_f32 v48, v25, v26, op_sel:[0, 0, 1]
v_cvt_off_f32_i4 v25, v27, src0_sel:BYTE_1
v_cvt_off_f32_i4 v26, v27, src0_sel:BYTE_3
v_cvt_pk_fp8_f32 v49, v25, v26, op_sel:[0, 0, 1]

	;;#ASMEND
	v_perm_b32 v23, v195, v195, s16
	v_mov_b32_e32 v24, v193
	;;#ASMSTART
	v_cvt_off_f32_i4 v25, v24
v_cvt_off_f32_i4 v26, v24, src0_sel:BYTE_2
v_cvt_pk_fp8_f32 v50, v25, v26
v_cvt_off_f32_i4 v25, v24, src0_sel:BYTE_1
v_cvt_off_f32_i4 v26, v24, src0_sel:BYTE_3
v_cvt_pk_fp8_f32 v51, v25, v26
v_lshrrev_b32 v27, 4, v24
v_cvt_off_f32_i4 v25, v27
v_cvt_off_f32_i4 v26, v27, src0_sel:BYTE_2
v_cvt_pk_fp8_f32 v50, v25, v26, op_sel:[0, 0, 1]
v_cvt_off_f32_i4 v25, v27, src0_sel:BYTE_1
v_cvt_off_f32_i4 v26, v27, src0_sel:BYTE_3
v_cvt_pk_fp8_f32 v51, v25, v26, op_sel:[0, 0, 1]

	;;#ASMEND
	s_nop 0
	v_mov_b32_e32 v24, v194
	;;#ASMSTART
	v_cvt_off_f32_i4 v25, v24
v_cvt_off_f32_i4 v26, v24, src0_sel:BYTE_2
v_cvt_pk_fp8_f32 v52, v25, v26
v_cvt_off_f32_i4 v25, v24, src0_sel:BYTE_1
v_cvt_off_f32_i4 v26, v24, src0_sel:BYTE_3
v_cvt_pk_fp8_f32 v53, v25, v26
v_lshrrev_b32 v27, 4, v24
v_cvt_off_f32_i4 v25, v27
v_cvt_off_f32_i4 v26, v27, src0_sel:BYTE_2
v_cvt_pk_fp8_f32 v52, v25, v26, op_sel:[0, 0, 1]
v_cvt_off_f32_i4 v25, v27, src0_sel:BYTE_1
v_cvt_off_f32_i4 v26, v27, src0_sel:BYTE_3
v_cvt_pk_fp8_f32 v53, v25, v26, op_sel:[0, 0, 1]

	;;#ASMEND
	s_nop 0
	;; [unrolled: 18-line block ×26, first 2 shown]
	v_mov_b32_e32 v208, v89
	;;#ASMSTART
	v_cvt_off_f32_i4 v209, v208
v_cvt_off_f32_i4 v210, v208, src0_sel:BYTE_2
v_cvt_pk_fp8_f32 v30, v209, v210
v_cvt_off_f32_i4 v209, v208, src0_sel:BYTE_1
v_cvt_off_f32_i4 v210, v208, src0_sel:BYTE_3
v_cvt_pk_fp8_f32 v31, v209, v210
v_lshrrev_b32 v211, 4, v208
v_cvt_off_f32_i4 v209, v211
v_cvt_off_f32_i4 v210, v211, src0_sel:BYTE_2
v_cvt_pk_fp8_f32 v30, v209, v210, op_sel:[0, 0, 1]
v_cvt_off_f32_i4 v209, v211, src0_sel:BYTE_1
v_cvt_off_f32_i4 v210, v211, src0_sel:BYTE_3
v_cvt_pk_fp8_f32 v31, v209, v210, op_sel:[0, 0, 1]

	;;#ASMEND
	; sched_barrier mask(0x00000000)
	s_add_i32 s12, s12, 2
	v_accvgpr_read_b32 v208, a46
	v_cmp_ge_i32_e32 vcc, s12, v208
	s_or_b64 s[14:15], vcc, s[14:15]
	s_andn2_b64 exec, exec, s[14:15]
	s_cbranch_execz .LBB3_144
.LBB3_64:                               ; =>This Loop Header: Depth=1
                                        ;     Child Loop BB3_65 Depth 2
                                        ;     Child Loop BB3_67 Depth 2
	;; [unrolled: 1-line block ×32, first 2 shown]
	v_accvgpr_read_b32 v22, a40
	v_accvgpr_read_b32 v23, a41
	flat_load_dwordx3 v[60:62], v[14:15]
	flat_load_dwordx4 v[208:211], v[22:23]
	s_mov_b64 s[2:3], exec
	s_waitcnt vmcnt(0) lgkmcnt(0)
	v_lshrrev_b32_e32 v212, 31, v60
	v_lshrrev_b32_e32 v74, 31, v211
	v_and_b32_e32 v23, 0xffff, v209
	v_mov_b32_e32 v22, v208
	v_add_u32_e32 v212, v60, v212
	v_lshl_add_u64 v[208:209], v[210:211], 0, v[74:75]
	v_ashrrev_i32_e32 v212, 1, v212
	v_alignbit_b32 v76, v209, v208, 1
.LBB3_65:                               ;   Parent Loop BB3_64 Depth=1
                                        ; =>  This Inner Loop Header: Depth=2
	v_readfirstlane_b32 s4, v22
	v_readfirstlane_b32 s5, v23
	;; [unrolled: 1-line block ×4, first 2 shown]
	v_cmp_eq_u64_e32 vcc, s[4:5], v[22:23]
	s_nop 0
	v_cmp_eq_u64_e64 s[0:1], s[6:7], v[76:77]
	s_and_b64 s[0:1], vcc, s[0:1]
	s_and_saveexec_b64 s[0:1], s[0:1]
	buffer_load_dwordx4 v[208:211], v212, s[4:7], 0 offen
                                        ; implicit-def: $vgpr212
	s_xor_b64 exec, exec, s[0:1]
	s_cbranch_execnz .LBB3_65
; %bb.66:                               ;   in Loop: Header=BB3_64 Depth=1
	s_mov_b64 exec, s[2:3]
	v_add_u32_e32 v212, 1, v61
	flat_store_dword v[14:15], v212 offset:4
	flat_load_dword v212, v[12:13] offset:16
	s_mov_b64 s[2:3], exec
	s_waitcnt vmcnt(0) lgkmcnt(0)
	v_add_u32_e32 v224, v212, v60
	v_lshrrev_b32_e32 v212, 31, v224
	v_add_u32_e32 v212, v224, v212
	v_ashrrev_i32_e32 v225, 1, v212
	flat_store_dword v[14:15], v224
.LBB3_67:                               ;   Parent Loop BB3_64 Depth=1
                                        ; =>  This Inner Loop Header: Depth=2
	v_readfirstlane_b32 s4, v22
	v_readfirstlane_b32 s5, v23
	;; [unrolled: 1-line block ×4, first 2 shown]
	v_cmp_eq_u64_e32 vcc, s[4:5], v[22:23]
	s_nop 0
	v_cmp_eq_u64_e64 s[0:1], s[6:7], v[76:77]
	s_and_b64 s[0:1], vcc, s[0:1]
	s_and_saveexec_b64 s[0:1], s[0:1]
	buffer_load_dwordx4 v[212:215], v225, s[4:7], 0 offen
                                        ; implicit-def: $vgpr225
	s_xor_b64 exec, exec, s[0:1]
	s_cbranch_execnz .LBB3_67
; %bb.68:                               ;   in Loop: Header=BB3_64 Depth=1
	s_mov_b64 exec, s[2:3]
	v_add_u32_e32 v225, 2, v61
	flat_store_dword v[14:15], v225 offset:4
	flat_load_dword v225, v[12:13] offset:16
	s_mov_b64 s[2:3], exec
	s_waitcnt vmcnt(0) lgkmcnt(0)
	v_add_u32_e32 v228, v225, v224
	v_lshrrev_b32_e32 v224, 31, v228
	v_add_u32_e32 v224, v228, v224
	v_ashrrev_i32_e32 v229, 1, v224
	flat_store_dword v[14:15], v228
.LBB3_69:                               ;   Parent Loop BB3_64 Depth=1
                                        ; =>  This Inner Loop Header: Depth=2
	v_readfirstlane_b32 s4, v22
	v_readfirstlane_b32 s5, v23
	;; [unrolled: 1-line block ×4, first 2 shown]
	v_cmp_eq_u64_e32 vcc, s[4:5], v[22:23]
	s_nop 0
	v_cmp_eq_u64_e64 s[0:1], s[6:7], v[76:77]
	s_and_b64 s[0:1], vcc, s[0:1]
	s_and_saveexec_b64 s[0:1], s[0:1]
	buffer_load_dwordx4 v[224:227], v229, s[4:7], 0 offen
                                        ; implicit-def: $vgpr229
	s_xor_b64 exec, exec, s[0:1]
	s_cbranch_execnz .LBB3_69
; %bb.70:                               ;   in Loop: Header=BB3_64 Depth=1
	s_mov_b64 exec, s[2:3]
	v_add_u32_e32 v229, 3, v61
	flat_store_dword v[14:15], v229 offset:4
	flat_load_dword v229, v[12:13] offset:16
	s_mov_b64 s[2:3], exec
	s_waitcnt vmcnt(0) lgkmcnt(0)
	v_add_u32_e32 v240, v229, v228
	v_lshrrev_b32_e32 v228, 31, v240
	v_add_u32_e32 v228, v240, v228
	v_ashrrev_i32_e32 v241, 1, v228
	flat_store_dword v[14:15], v240
.LBB3_71:                               ;   Parent Loop BB3_64 Depth=1
                                        ; =>  This Inner Loop Header: Depth=2
	v_readfirstlane_b32 s4, v22
	v_readfirstlane_b32 s5, v23
	;; [unrolled: 1-line block ×4, first 2 shown]
	v_cmp_eq_u64_e32 vcc, s[4:5], v[22:23]
	s_nop 0
	v_cmp_eq_u64_e64 s[0:1], s[6:7], v[76:77]
	s_and_b64 s[0:1], vcc, s[0:1]
	s_and_saveexec_b64 s[0:1], s[0:1]
	buffer_load_dwordx4 v[228:231], v241, s[4:7], 0 offen
                                        ; implicit-def: $vgpr241
	s_xor_b64 exec, exec, s[0:1]
	s_cbranch_execnz .LBB3_71
; %bb.72:                               ;   in Loop: Header=BB3_64 Depth=1
	s_mov_b64 exec, s[2:3]
	v_add_u32_e32 v241, 4, v61
	flat_store_dword v[14:15], v241 offset:4
	flat_load_dword v241, v[12:13] offset:16
	s_mov_b64 s[2:3], exec
	s_waitcnt vmcnt(0) lgkmcnt(0)
	v_add_u32_e32 v244, v241, v240
	v_lshrrev_b32_e32 v240, 31, v244
	v_add_u32_e32 v240, v244, v240
	v_ashrrev_i32_e32 v245, 1, v240
	flat_store_dword v[14:15], v244
.LBB3_73:                               ;   Parent Loop BB3_64 Depth=1
                                        ; =>  This Inner Loop Header: Depth=2
	v_readfirstlane_b32 s4, v22
	v_readfirstlane_b32 s5, v23
	;; [unrolled: 1-line block ×4, first 2 shown]
	v_cmp_eq_u64_e32 vcc, s[4:5], v[22:23]
	s_nop 0
	v_cmp_eq_u64_e64 s[0:1], s[6:7], v[76:77]
	s_and_b64 s[0:1], vcc, s[0:1]
	s_and_saveexec_b64 s[0:1], s[0:1]
	buffer_load_dwordx4 v[240:243], v245, s[4:7], 0 offen
                                        ; implicit-def: $vgpr245
	s_xor_b64 exec, exec, s[0:1]
	s_cbranch_execnz .LBB3_73
; %bb.74:                               ;   in Loop: Header=BB3_64 Depth=1
	s_mov_b64 exec, s[2:3]
	v_add_u32_e32 v245, 5, v61
	flat_store_dword v[14:15], v245 offset:4
	flat_load_dword v245, v[12:13] offset:16
	s_mov_b64 s[2:3], exec
	s_waitcnt vmcnt(0) lgkmcnt(0)
	v_add_u32_e32 v40, v245, v244
	v_lshrrev_b32_e32 v244, 31, v40
	v_add_u32_e32 v244, v40, v244
	v_ashrrev_i32_e32 v41, 1, v244
	flat_store_dword v[14:15], v40
.LBB3_75:                               ;   Parent Loop BB3_64 Depth=1
                                        ; =>  This Inner Loop Header: Depth=2
	v_readfirstlane_b32 s4, v22
	v_readfirstlane_b32 s5, v23
	;; [unrolled: 1-line block ×4, first 2 shown]
	v_cmp_eq_u64_e32 vcc, s[4:5], v[22:23]
	s_nop 0
	v_cmp_eq_u64_e64 s[0:1], s[6:7], v[76:77]
	s_and_b64 s[0:1], vcc, s[0:1]
	s_and_saveexec_b64 s[0:1], s[0:1]
	buffer_load_dwordx4 v[244:247], v41, s[4:7], 0 offen
                                        ; implicit-def: $vgpr41
	s_xor_b64 exec, exec, s[0:1]
	s_cbranch_execnz .LBB3_75
; %bb.76:                               ;   in Loop: Header=BB3_64 Depth=1
	s_mov_b64 exec, s[2:3]
	v_add_u32_e32 v41, 6, v61
	flat_store_dword v[14:15], v41 offset:4
	flat_load_dword v41, v[12:13] offset:16
	s_mov_b64 s[2:3], exec
	s_waitcnt vmcnt(0) lgkmcnt(0)
	v_add_u32_e32 v44, v41, v40
	v_lshrrev_b32_e32 v40, 31, v44
	v_add_u32_e32 v40, v44, v40
	v_ashrrev_i32_e32 v45, 1, v40
	flat_store_dword v[14:15], v44
.LBB3_77:                               ;   Parent Loop BB3_64 Depth=1
                                        ; =>  This Inner Loop Header: Depth=2
	v_readfirstlane_b32 s4, v22
	v_readfirstlane_b32 s5, v23
	;; [unrolled: 1-line block ×4, first 2 shown]
	v_cmp_eq_u64_e32 vcc, s[4:5], v[22:23]
	s_nop 0
	v_cmp_eq_u64_e64 s[0:1], s[6:7], v[76:77]
	s_and_b64 s[0:1], vcc, s[0:1]
	s_and_saveexec_b64 s[0:1], s[0:1]
	buffer_load_dwordx4 v[40:43], v45, s[4:7], 0 offen
                                        ; implicit-def: $vgpr45
	s_xor_b64 exec, exec, s[0:1]
	s_cbranch_execnz .LBB3_77
; %bb.78:                               ;   in Loop: Header=BB3_64 Depth=1
	s_mov_b64 exec, s[2:3]
	v_add_u32_e32 v45, 7, v61
	flat_store_dword v[14:15], v45 offset:4
	flat_load_dword v45, v[12:13] offset:16
	s_mov_b64 s[2:3], exec
	s_waitcnt vmcnt(0) lgkmcnt(0)
	v_add_u32_e32 v56, v45, v44
	v_lshrrev_b32_e32 v44, 31, v56
	v_add_u32_e32 v44, v56, v44
	v_ashrrev_i32_e32 v57, 1, v44
	flat_store_dword v[14:15], v56
.LBB3_79:                               ;   Parent Loop BB3_64 Depth=1
                                        ; =>  This Inner Loop Header: Depth=2
	v_readfirstlane_b32 s4, v22
	v_readfirstlane_b32 s5, v23
	;; [unrolled: 1-line block ×4, first 2 shown]
	v_cmp_eq_u64_e32 vcc, s[4:5], v[22:23]
	s_nop 0
	v_cmp_eq_u64_e64 s[0:1], s[6:7], v[76:77]
	s_and_b64 s[0:1], vcc, s[0:1]
	s_and_saveexec_b64 s[0:1], s[0:1]
	buffer_load_dwordx4 v[44:47], v57, s[4:7], 0 offen
                                        ; implicit-def: $vgpr57
                                        ; implicit-def: $vgpr22_vgpr23
	s_xor_b64 exec, exec, s[0:1]
	s_cbranch_execnz .LBB3_79
; %bb.80:                               ;   in Loop: Header=BB3_64 Depth=1
	s_mov_b64 exec, s[2:3]
	flat_store_dword v[14:15], v61 offset:4
	flat_load_dword v22, v[12:13] offset:16
	s_waitcnt vmcnt(0) lgkmcnt(0)
	v_mad_u64_u32 v[22:23], s[0:1], v22, -7, v[56:57]
	v_accvgpr_read_b32 v57, a43
	flat_store_dword v[14:15], v22
	v_accvgpr_read_b32 v56, a42
	flat_load_dwordx4 v[56:59], v[56:57]
	s_waitcnt vmcnt(0) lgkmcnt(0)
	v_add_u32_e32 v154, v61, v56
	flat_load_dwordx2 v[60:61], v[14:15] offset:12
	v_mov_b32_e32 v140, v57
	v_mov_b32_e32 v141, v58
	v_or_b32_e32 v23, v57, v58
	v_or3_b32 v23, v23, v56, v59
	v_pk_mov_b32 v[156:157], v[140:141], v[140:141] op_sel:[1,0]
	v_cmp_ne_u32_e32 vcc, 0, v23
	v_add_u32_e32 v155, v62, v157
	s_waitcnt vmcnt(0) lgkmcnt(0)
	v_add_u32_e32 v157, v61, v59
	v_add_u32_e32 v156, v60, v156
	flat_store_dwordx4 v[14:15], v[154:157] offset:4
	s_and_saveexec_b64 s[0:1], vcc
	s_cbranch_execz .LBB3_82
; %bb.81:                               ;   in Loop: Header=BB3_64 Depth=1
	flat_load_dwordx3 v[60:62], v[12:13] offset:16
	s_waitcnt vmcnt(0) lgkmcnt(0)
	v_mul_lo_u32 v23, v60, v56
	v_mul_lo_u32 v56, v62, v141
	;; [unrolled: 1-line block ×3, first 2 shown]
	v_add3_u32 v22, v59, v22, v23
	v_add3_u32 v22, v22, v57, v56
	flat_store_dword v[14:15], v22
.LBB3_82:                               ;   in Loop: Header=BB3_64 Depth=1
	s_or_b64 exec, exec, s[0:1]
	flat_load_dwordx4 a[8:11], v[20:21]
	v_perm_b32 v17, v182, v17, s13
	v_perm_b32 v10, v10, v126, s13
	v_lshl_or_b32 v10, v10, 16, v17
	v_perm_b32 v17, v181, v105, s13
	v_perm_b32 v11, v11, v18, s13
	v_lshl_or_b32 v11, v11, 16, v17
	v_perm_b32 v17, v180, v63, s13
	v_perm_b32 v16, v16, v124, s13
	;; [unrolled: 1-line block ×3, first 2 shown]
	v_lshl_or_b32 v16, v16, 16, v17
	v_perm_b32 v17, v183, v143, s13
	v_lshlrev_b32_e32 v18, 16, v18
	v_or_b32_e32 v17, v17, v18
	v_perm_b32 v17, v17, v143, s13
	v_or_b32_e32 v17, v17, v18
	v_mov_b32_e32 v18, v16
	s_waitcnt vmcnt(0) lgkmcnt(0)
	v_mfma_f32_16x16x128_f8f6f4 a[8:11], a[0:7], v[32:39], a[8:11]
	s_nop 11
	flat_store_dwordx4 v[20:21], a[8:11]
	flat_load_dwordx4 a[8:11], v[20:21] offset:16
	s_waitcnt vmcnt(0) lgkmcnt(0)
	v_mfma_f32_16x16x128_f8f6f4 a[8:11], a[0:7], v[48:55], a[8:11]
	s_nop 11
	flat_store_dwordx4 v[20:21], a[8:11] offset:16
	flat_load_dwordx4 a[8:11], v[20:21] offset:32
	s_waitcnt vmcnt(0) lgkmcnt(0)
	v_mfma_f32_16x16x128_f8f6f4 a[8:11], a[0:7], v[64:71], a[8:11]
	s_nop 11
	flat_store_dwordx4 v[20:21], a[8:11] offset:32
	flat_load_dwordx4 a[8:11], v[20:21] offset:48
	s_waitcnt vmcnt(0) lgkmcnt(0)
	v_mfma_f32_16x16x128_f8f6f4 a[8:11], a[0:7], v[80:87], a[8:11]
	s_nop 11
	flat_store_dwordx4 v[20:21], a[8:11] offset:48
	flat_load_dwordx4 a[8:11], v[20:21] offset:64
	s_waitcnt vmcnt(0) lgkmcnt(0)
	v_mfma_f32_16x16x128_f8f6f4 a[8:11], a[0:7], v[96:103], a[8:11]
	s_nop 11
	flat_store_dwordx4 v[20:21], a[8:11] offset:64
	flat_load_dwordx4 a[8:11], v[20:21] offset:80
	s_waitcnt vmcnt(0) lgkmcnt(0)
	v_mfma_f32_16x16x128_f8f6f4 a[8:11], a[0:7], v[112:119], a[8:11]
	s_nop 11
	flat_store_dwordx4 v[20:21], a[8:11] offset:80
	flat_load_dwordx4 a[8:11], v[20:21] offset:96
	s_waitcnt vmcnt(0) lgkmcnt(0)
	v_mfma_f32_16x16x128_f8f6f4 a[8:11], a[0:7], v[128:135], a[8:11]
	s_nop 11
	flat_store_dwordx4 v[20:21], a[8:11] offset:96
	flat_load_dwordx4 a[8:11], v[20:21] offset:112
	s_waitcnt vmcnt(0) lgkmcnt(0)
	v_mfma_f32_16x16x128_f8f6f4 a[0:3], a[0:7], v[24:31], a[8:11]
	; sched_group_barrier mask(0x00000008) size(1) SyncID(0)
	; sched_group_barrier mask(0x00000020) size(1) SyncID(0)
	; sched_group_barrier mask(0x00000008) size(1) SyncID(0)
	; sched_group_barrier mask(0x00000020) size(1) SyncID(0)
	; sched_group_barrier mask(0x00000008) size(1) SyncID(0)
	; sched_group_barrier mask(0x00000020) size(1) SyncID(0)
	; sched_group_barrier mask(0x00000008) size(1) SyncID(0)
	; sched_group_barrier mask(0x00000100) size(1) SyncID(0)
	; sched_group_barrier mask(0x00000008) size(0) SyncID(0)
	; sched_group_barrier mask(0x00000020) size(1) SyncID(0)
	; sched_group_barrier mask(0x00000008) size(1) SyncID(0)
	; sched_group_barrier mask(0x00000020) size(1) SyncID(0)
	; sched_group_barrier mask(0x00000008) size(1) SyncID(0)
	; sched_group_barrier mask(0x00000020) size(1) SyncID(0)
	; sched_group_barrier mask(0x00000008) size(1) SyncID(0)
	; sched_group_barrier mask(0x00000020) size(1) SyncID(0)
	; sched_group_barrier mask(0x00000008) size(1) SyncID(0)
	; sched_group_barrier mask(0x00000100) size(1) SyncID(0)
	; sched_group_barrier mask(0x00000008) size(0) SyncID(0)
	; sched_group_barrier mask(0x00000020) size(1) SyncID(0)
	s_nop 11
	flat_store_dwordx4 v[20:21], a[0:3] offset:112
	flat_load_dwordx2 v[30:31], v[0:1] offset:1148
	flat_load_dwordx2 v[32:33], v[0:1] offset:1164
	flat_load_dwordx4 v[22:25], v[0:1] offset:1176
	flat_load_dwordx3 v[26:28], v[0:1] offset:1132
	flat_load_dwordx2 v[34:35], v[8:9]
	s_waitcnt vmcnt(0) lgkmcnt(0)
	v_sub_u32_e32 v29, v30, v33
	v_add3_u32 v23, v29, v23, 32
	v_ashrrev_i32_e32 v30, 31, v23
	v_lshrrev_b32_e32 v30, 29, v30
	v_add_u32_e32 v30, v23, v30
	v_and_b32_e32 v30, -8, v30
	v_sub_u32_e32 v29, v31, v32
	v_sub_u32_e32 v30, v23, v30
	v_xor_b32_e32 v29, v30, v29
	v_sub_u32_e32 v23, v23, v28
	v_sub_u32_e32 v28, v29, v27
	v_lshl_add_u32 v23, v23, 7, v26
	v_add_u32_e32 v25, 16, v25
	v_lshl_add_u32 v28, v28, 4, v23
	v_ashrrev_i32_e32 v26, 31, v25
	v_ashrrev_i32_e32 v29, 31, v28
	v_lshrrev_b32_e32 v26, 28, v26
	v_lshl_add_u64 v[28:29], v[34:35], 0, v[28:29]
	v_add_u32_e32 v26, v25, v26
	v_add_u32_e32 v22, v32, v22
	flat_load_dwordx4 a[0:3], v[28:29]
	v_lshrrev_b32_e32 v28, 4, v26
	v_sub_u32_e32 v22, v31, v22
	v_add_u32_e32 v22, v22, v28
	v_xor_b32_e32 v22, v22, v30
	v_and_b32_e32 v26, -16, v26
	v_sub_u32_e32 v22, v22, v27
	v_sub_u32_e32 v25, v25, v26
	v_lshlrev_b32_e32 v22, 4, v22
	v_sub_u32_e32 v23, v23, v24
	v_add3_u32 v22, v23, v25, v22
	v_ashrrev_i32_e32 v23, 31, v22
	v_lshl_add_u64 v[22:23], v[34:35], 0, v[22:23]
	flat_load_dwordx4 a[4:7], v[22:23]
	v_perm_b32 v22, v198, v207, s13
	v_perm_b32 v23, v206, v106, s13
	v_lshl_or_b32 v198, v23, 16, v22
	v_perm_b32 v22, v197, v219, s13
	v_perm_b32 v23, v217, v216, s13
	v_lshl_or_b32 v197, v23, 16, v22
	;; [unrolled: 3-line block ×3, first 2 shown]
	v_perm_b32 v23, v200, v190, s13
	v_perm_b32 v22, v199, v191, s13
	v_lshlrev_b32_e32 v23, 16, v23
	v_or_b32_e32 v22, v22, v23
	v_perm_b32 v22, v22, v191, s13
	v_mov_b32_e32 v24, v196
	v_or_b32_e32 v199, v22, v23
	;;#ASMSTART
	v_cvt_off_f32_i4 v25, v24
v_cvt_off_f32_i4 v26, v24, src0_sel:BYTE_2
v_cvt_pk_fp8_f32 v22, v25, v26
v_cvt_off_f32_i4 v25, v24, src0_sel:BYTE_1
v_cvt_off_f32_i4 v26, v24, src0_sel:BYTE_3
v_cvt_pk_fp8_f32 v23, v25, v26
v_lshrrev_b32 v27, 4, v24
v_cvt_off_f32_i4 v25, v27
v_cvt_off_f32_i4 v26, v27, src0_sel:BYTE_2
v_cvt_pk_fp8_f32 v22, v25, v26, op_sel:[0, 0, 1]
v_cvt_off_f32_i4 v25, v27, src0_sel:BYTE_1
v_cvt_off_f32_i4 v26, v27, src0_sel:BYTE_3
v_cvt_pk_fp8_f32 v23, v25, v26, op_sel:[0, 0, 1]

	;;#ASMEND
	s_nop 0
	v_mov_b32_e32 v26, v197
	;;#ASMSTART
	v_cvt_off_f32_i4 v27, v26
v_cvt_off_f32_i4 v28, v26, src0_sel:BYTE_2
v_cvt_pk_fp8_f32 v24, v27, v28
v_cvt_off_f32_i4 v27, v26, src0_sel:BYTE_1
v_cvt_off_f32_i4 v28, v26, src0_sel:BYTE_3
v_cvt_pk_fp8_f32 v25, v27, v28
v_lshrrev_b32 v29, 4, v26
v_cvt_off_f32_i4 v27, v29
v_cvt_off_f32_i4 v28, v29, src0_sel:BYTE_2
v_cvt_pk_fp8_f32 v24, v27, v28, op_sel:[0, 0, 1]
v_cvt_off_f32_i4 v27, v29, src0_sel:BYTE_1
v_cvt_off_f32_i4 v28, v29, src0_sel:BYTE_3
v_cvt_pk_fp8_f32 v25, v27, v28, op_sel:[0, 0, 1]

	;;#ASMEND
	s_nop 0
	v_mov_b32_e32 v28, v198
	;; [unrolled: 18-line block ×3, first 2 shown]
	;;#ASMSTART
	v_cvt_off_f32_i4 v31, v30
v_cvt_off_f32_i4 v32, v30, src0_sel:BYTE_2
v_cvt_pk_fp8_f32 v28, v31, v32
v_cvt_off_f32_i4 v31, v30, src0_sel:BYTE_1
v_cvt_off_f32_i4 v32, v30, src0_sel:BYTE_3
v_cvt_pk_fp8_f32 v29, v31, v32
v_lshrrev_b32 v33, 4, v30
v_cvt_off_f32_i4 v31, v33
v_cvt_off_f32_i4 v32, v33, src0_sel:BYTE_2
v_cvt_pk_fp8_f32 v28, v31, v32, op_sel:[0, 0, 1]
v_cvt_off_f32_i4 v31, v33, src0_sel:BYTE_1
v_cvt_off_f32_i4 v32, v33, src0_sel:BYTE_3
v_cvt_pk_fp8_f32 v29, v31, v32, op_sel:[0, 0, 1]

	;;#ASMEND
	s_nop 0
	v_perm_b32 v30, v194, v204, s13
	v_perm_b32 v31, v201, v138, s13
	v_lshl_or_b32 v194, v31, 16, v30
	v_perm_b32 v30, v193, v205, s13
	v_perm_b32 v31, v203, v202, s13
	v_lshl_or_b32 v193, v31, 16, v30
	;; [unrolled: 3-line block ×3, first 2 shown]
	v_perm_b32 v31, v187, v185, s13
	v_perm_b32 v30, v195, v186, s13
	v_lshlrev_b32_e32 v31, 16, v31
	v_or_b32_e32 v30, v30, v31
	v_perm_b32 v30, v30, v186, s13
	v_mov_b32_e32 v32, v192
	v_or_b32_e32 v195, v30, v31
	;;#ASMSTART
	v_cvt_off_f32_i4 v33, v32
v_cvt_off_f32_i4 v34, v32, src0_sel:BYTE_2
v_cvt_pk_fp8_f32 v30, v33, v34
v_cvt_off_f32_i4 v33, v32, src0_sel:BYTE_1
v_cvt_off_f32_i4 v34, v32, src0_sel:BYTE_3
v_cvt_pk_fp8_f32 v31, v33, v34
v_lshrrev_b32 v35, 4, v32
v_cvt_off_f32_i4 v33, v35
v_cvt_off_f32_i4 v34, v35, src0_sel:BYTE_2
v_cvt_pk_fp8_f32 v30, v33, v34, op_sel:[0, 0, 1]
v_cvt_off_f32_i4 v33, v35, src0_sel:BYTE_1
v_cvt_off_f32_i4 v34, v35, src0_sel:BYTE_3
v_cvt_pk_fp8_f32 v31, v33, v34, op_sel:[0, 0, 1]

	;;#ASMEND
	s_nop 0
	v_mov_b32_e32 v34, v193
	;;#ASMSTART
	v_cvt_off_f32_i4 v35, v34
v_cvt_off_f32_i4 v36, v34, src0_sel:BYTE_2
v_cvt_pk_fp8_f32 v32, v35, v36
v_cvt_off_f32_i4 v35, v34, src0_sel:BYTE_1
v_cvt_off_f32_i4 v36, v34, src0_sel:BYTE_3
v_cvt_pk_fp8_f32 v33, v35, v36
v_lshrrev_b32 v37, 4, v34
v_cvt_off_f32_i4 v35, v37
v_cvt_off_f32_i4 v36, v37, src0_sel:BYTE_2
v_cvt_pk_fp8_f32 v32, v35, v36, op_sel:[0, 0, 1]
v_cvt_off_f32_i4 v35, v37, src0_sel:BYTE_1
v_cvt_off_f32_i4 v36, v37, src0_sel:BYTE_3
v_cvt_pk_fp8_f32 v33, v35, v36, op_sel:[0, 0, 1]

	;;#ASMEND
	s_nop 0
	v_mov_b32_e32 v36, v194
	;; [unrolled: 18-line block ×3, first 2 shown]
	;;#ASMSTART
	v_cvt_off_f32_i4 v39, v38
v_cvt_off_f32_i4 v48, v38, src0_sel:BYTE_2
v_cvt_pk_fp8_f32 v36, v39, v48
v_cvt_off_f32_i4 v39, v38, src0_sel:BYTE_1
v_cvt_off_f32_i4 v48, v38, src0_sel:BYTE_3
v_cvt_pk_fp8_f32 v37, v39, v48
v_lshrrev_b32 v49, 4, v38
v_cvt_off_f32_i4 v39, v49
v_cvt_off_f32_i4 v48, v49, src0_sel:BYTE_2
v_cvt_pk_fp8_f32 v36, v39, v48, op_sel:[0, 0, 1]
v_cvt_off_f32_i4 v39, v49, src0_sel:BYTE_1
v_cvt_off_f32_i4 v48, v49, src0_sel:BYTE_3
v_cvt_pk_fp8_f32 v37, v39, v48, op_sel:[0, 0, 1]

	;;#ASMEND
	s_nop 0
	;;#ASMSTART
	v_cvt_off_f32_i4 v19, v18
v_cvt_off_f32_i4 v38, v18, src0_sel:BYTE_2
v_cvt_pk_fp8_f32 v48, v19, v38
v_cvt_off_f32_i4 v19, v18, src0_sel:BYTE_1
v_cvt_off_f32_i4 v38, v18, src0_sel:BYTE_3
v_cvt_pk_fp8_f32 v49, v19, v38
v_lshrrev_b32 v39, 4, v18
v_cvt_off_f32_i4 v19, v39
v_cvt_off_f32_i4 v38, v39, src0_sel:BYTE_2
v_cvt_pk_fp8_f32 v48, v19, v38, op_sel:[0, 0, 1]
v_cvt_off_f32_i4 v19, v39, src0_sel:BYTE_1
v_cvt_off_f32_i4 v38, v39, src0_sel:BYTE_3
v_cvt_pk_fp8_f32 v49, v19, v38, op_sel:[0, 0, 1]

	;;#ASMEND
	s_nop 0
	v_mov_b32_e32 v18, v11
	;;#ASMSTART
	v_cvt_off_f32_i4 v19, v18
v_cvt_off_f32_i4 v38, v18, src0_sel:BYTE_2
v_cvt_pk_fp8_f32 v50, v19, v38
v_cvt_off_f32_i4 v19, v18, src0_sel:BYTE_1
v_cvt_off_f32_i4 v38, v18, src0_sel:BYTE_3
v_cvt_pk_fp8_f32 v51, v19, v38
v_lshrrev_b32 v39, 4, v18
v_cvt_off_f32_i4 v19, v39
v_cvt_off_f32_i4 v38, v39, src0_sel:BYTE_2
v_cvt_pk_fp8_f32 v50, v19, v38, op_sel:[0, 0, 1]
v_cvt_off_f32_i4 v19, v39, src0_sel:BYTE_1
v_cvt_off_f32_i4 v38, v39, src0_sel:BYTE_3
v_cvt_pk_fp8_f32 v51, v19, v38, op_sel:[0, 0, 1]

	;;#ASMEND
	s_nop 0
	v_mov_b32_e32 v18, v10
	;; [unrolled: 18-line block ×3, first 2 shown]
	;;#ASMSTART
	v_cvt_off_f32_i4 v19, v18
v_cvt_off_f32_i4 v38, v18, src0_sel:BYTE_2
v_cvt_pk_fp8_f32 v54, v19, v38
v_cvt_off_f32_i4 v19, v18, src0_sel:BYTE_1
v_cvt_off_f32_i4 v38, v18, src0_sel:BYTE_3
v_cvt_pk_fp8_f32 v55, v19, v38
v_lshrrev_b32 v39, 4, v18
v_cvt_off_f32_i4 v19, v39
v_cvt_off_f32_i4 v38, v39, src0_sel:BYTE_2
v_cvt_pk_fp8_f32 v54, v19, v38, op_sel:[0, 0, 1]
v_cvt_off_f32_i4 v19, v39, src0_sel:BYTE_1
v_cvt_off_f32_i4 v38, v39, src0_sel:BYTE_3
v_cvt_pk_fp8_f32 v55, v19, v38, op_sel:[0, 0, 1]

	;;#ASMEND
	s_nop 0
	v_perm_b32 v18, v178, v255, s13
	v_perm_b32 v19, v252, v122, s13
	v_lshl_or_b32 v18, v19, 16, v18
	v_perm_b32 v19, v177, v254, s13
	v_perm_b32 v38, v251, v250, s13
	v_lshl_or_b32 v19, v38, 16, v19
	;; [unrolled: 3-line block ×3, first 2 shown]
	v_perm_b32 v39, v248, v238, s13
	v_perm_b32 v38, v179, v239, s13
	v_lshlrev_b32_e32 v39, 16, v39
	v_or_b32_e32 v38, v38, v39
	v_perm_b32 v38, v38, v239, s13
	v_or_b32_e32 v177, v38, v39
	v_mov_b32_e32 v38, v176
	;;#ASMSTART
	v_cvt_off_f32_i4 v39, v38
v_cvt_off_f32_i4 v66, v38, src0_sel:BYTE_2
v_cvt_pk_fp8_f32 v64, v39, v66
v_cvt_off_f32_i4 v39, v38, src0_sel:BYTE_1
v_cvt_off_f32_i4 v66, v38, src0_sel:BYTE_3
v_cvt_pk_fp8_f32 v65, v39, v66
v_lshrrev_b32 v67, 4, v38
v_cvt_off_f32_i4 v39, v67
v_cvt_off_f32_i4 v66, v67, src0_sel:BYTE_2
v_cvt_pk_fp8_f32 v64, v39, v66, op_sel:[0, 0, 1]
v_cvt_off_f32_i4 v39, v67, src0_sel:BYTE_1
v_cvt_off_f32_i4 v66, v67, src0_sel:BYTE_3
v_cvt_pk_fp8_f32 v65, v39, v66, op_sel:[0, 0, 1]

	;;#ASMEND
	s_nop 0
	v_mov_b32_e32 v38, v19
	;;#ASMSTART
	v_cvt_off_f32_i4 v39, v38
v_cvt_off_f32_i4 v68, v38, src0_sel:BYTE_2
v_cvt_pk_fp8_f32 v66, v39, v68
v_cvt_off_f32_i4 v39, v38, src0_sel:BYTE_1
v_cvt_off_f32_i4 v68, v38, src0_sel:BYTE_3
v_cvt_pk_fp8_f32 v67, v39, v68
v_lshrrev_b32 v69, 4, v38
v_cvt_off_f32_i4 v39, v69
v_cvt_off_f32_i4 v68, v69, src0_sel:BYTE_2
v_cvt_pk_fp8_f32 v66, v39, v68, op_sel:[0, 0, 1]
v_cvt_off_f32_i4 v39, v69, src0_sel:BYTE_1
v_cvt_off_f32_i4 v68, v69, src0_sel:BYTE_3
v_cvt_pk_fp8_f32 v67, v39, v68, op_sel:[0, 0, 1]

	;;#ASMEND
	s_nop 0
	;; [unrolled: 18-line block ×4, first 2 shown]
	v_perm_b32 v38, v166, v237, s13
	v_perm_b32 v39, v234, v110, s13
	v_lshl_or_b32 v166, v39, 16, v38
	v_perm_b32 v38, v165, v236, s13
	v_perm_b32 v39, v233, v232, s13
	v_lshl_or_b32 v165, v39, 16, v38
	;; [unrolled: 3-line block ×3, first 2 shown]
	v_perm_b32 v39, v222, v221, s13
	v_perm_b32 v38, v167, v121, s13
	v_lshlrev_b32_e32 v39, 16, v39
	v_or_b32_e32 v38, v38, v39
	v_perm_b32 v38, v38, v121, s13
	v_or_b32_e32 v167, v38, v39
	v_mov_b32_e32 v38, v164
	;;#ASMSTART
	v_cvt_off_f32_i4 v39, v38
v_cvt_off_f32_i4 v82, v38, src0_sel:BYTE_2
v_cvt_pk_fp8_f32 v80, v39, v82
v_cvt_off_f32_i4 v39, v38, src0_sel:BYTE_1
v_cvt_off_f32_i4 v82, v38, src0_sel:BYTE_3
v_cvt_pk_fp8_f32 v81, v39, v82
v_lshrrev_b32 v83, 4, v38
v_cvt_off_f32_i4 v39, v83
v_cvt_off_f32_i4 v82, v83, src0_sel:BYTE_2
v_cvt_pk_fp8_f32 v80, v39, v82, op_sel:[0, 0, 1]
v_cvt_off_f32_i4 v39, v83, src0_sel:BYTE_1
v_cvt_off_f32_i4 v82, v83, src0_sel:BYTE_3
v_cvt_pk_fp8_f32 v81, v39, v82, op_sel:[0, 0, 1]

	;;#ASMEND
	s_nop 0
	v_mov_b32_e32 v38, v165
	;;#ASMSTART
	v_cvt_off_f32_i4 v39, v38
v_cvt_off_f32_i4 v84, v38, src0_sel:BYTE_2
v_cvt_pk_fp8_f32 v82, v39, v84
v_cvt_off_f32_i4 v39, v38, src0_sel:BYTE_1
v_cvt_off_f32_i4 v84, v38, src0_sel:BYTE_3
v_cvt_pk_fp8_f32 v83, v39, v84
v_lshrrev_b32 v85, 4, v38
v_cvt_off_f32_i4 v39, v85
v_cvt_off_f32_i4 v84, v85, src0_sel:BYTE_2
v_cvt_pk_fp8_f32 v82, v39, v84, op_sel:[0, 0, 1]
v_cvt_off_f32_i4 v39, v85, src0_sel:BYTE_1
v_cvt_off_f32_i4 v84, v85, src0_sel:BYTE_3
v_cvt_pk_fp8_f32 v83, v39, v84, op_sel:[0, 0, 1]

	;;#ASMEND
	s_nop 0
	;; [unrolled: 18-line block ×4, first 2 shown]
	v_perm_b32 v38, v146, v123, s13
	v_perm_b32 v39, v137, v78, s13
	v_lshl_or_b32 v178, v39, 16, v38
	v_perm_b32 v38, v145, v127, s13
	v_perm_b32 v39, v111, v109, s13
	v_lshl_or_b32 v179, v39, 16, v38
	;; [unrolled: 3-line block ×3, first 2 shown]
	v_accvgpr_read_b32 v39, a49
	v_accvgpr_read_b32 v96, a50
	v_perm_b32 v39, v96, v39, s13
	v_perm_b32 v38, v147, v107, s13
	v_lshlrev_b32_e32 v39, 16, v39
	v_or_b32_e32 v38, v38, v39
	v_perm_b32 v38, v38, v107, s13
	v_or_b32_e32 v180, v38, v39
	v_mov_b32_e32 v38, v181
	;;#ASMSTART
	v_cvt_off_f32_i4 v39, v38
v_cvt_off_f32_i4 v98, v38, src0_sel:BYTE_2
v_cvt_pk_fp8_f32 v96, v39, v98
v_cvt_off_f32_i4 v39, v38, src0_sel:BYTE_1
v_cvt_off_f32_i4 v98, v38, src0_sel:BYTE_3
v_cvt_pk_fp8_f32 v97, v39, v98
v_lshrrev_b32 v99, 4, v38
v_cvt_off_f32_i4 v39, v99
v_cvt_off_f32_i4 v98, v99, src0_sel:BYTE_2
v_cvt_pk_fp8_f32 v96, v39, v98, op_sel:[0, 0, 1]
v_cvt_off_f32_i4 v39, v99, src0_sel:BYTE_1
v_cvt_off_f32_i4 v98, v99, src0_sel:BYTE_3
v_cvt_pk_fp8_f32 v97, v39, v98, op_sel:[0, 0, 1]

	;;#ASMEND
	s_nop 0
	v_mov_b32_e32 v38, v179
	;;#ASMSTART
	v_cvt_off_f32_i4 v39, v38
v_cvt_off_f32_i4 v100, v38, src0_sel:BYTE_2
v_cvt_pk_fp8_f32 v98, v39, v100
v_cvt_off_f32_i4 v39, v38, src0_sel:BYTE_1
v_cvt_off_f32_i4 v100, v38, src0_sel:BYTE_3
v_cvt_pk_fp8_f32 v99, v39, v100
v_lshrrev_b32 v101, 4, v38
v_cvt_off_f32_i4 v39, v101
v_cvt_off_f32_i4 v100, v101, src0_sel:BYTE_2
v_cvt_pk_fp8_f32 v98, v39, v100, op_sel:[0, 0, 1]
v_cvt_off_f32_i4 v39, v101, src0_sel:BYTE_1
v_cvt_off_f32_i4 v100, v101, src0_sel:BYTE_3
v_cvt_pk_fp8_f32 v99, v39, v100, op_sel:[0, 0, 1]

	;;#ASMEND
	s_nop 0
	;; [unrolled: 18-line block ×4, first 2 shown]
	v_accvgpr_read_b32 v38, a53
	v_perm_b32 v38, v150, v38, s13
	v_perm_b32 v39, v79, v94, s13
	v_lshl_or_b32 v182, v39, 16, v38
	v_accvgpr_read_b32 v39, a51
	v_accvgpr_read_b32 v112, a52
	v_perm_b32 v38, v149, v153, s13
	v_perm_b32 v39, v112, v39, s13
	v_lshl_or_b32 v183, v39, 16, v38
	v_perm_b32 v38, v148, v175, s13
	v_perm_b32 v39, v139, v92, s13
	v_lshl_or_b32 v57, v39, 16, v38
	v_accvgpr_read_b32 v39, a47
	v_accvgpr_read_b32 v112, a48
	v_perm_b32 v39, v112, v39, s13
	v_perm_b32 v38, v151, v73, s13
	v_lshlrev_b32_e32 v39, 16, v39
	v_or_b32_e32 v38, v38, v39
	v_perm_b32 v38, v38, v73, s13
	v_or_b32_e32 v56, v38, v39
	v_mov_b32_e32 v38, v57
	;;#ASMSTART
	v_cvt_off_f32_i4 v39, v38
v_cvt_off_f32_i4 v114, v38, src0_sel:BYTE_2
v_cvt_pk_fp8_f32 v112, v39, v114
v_cvt_off_f32_i4 v39, v38, src0_sel:BYTE_1
v_cvt_off_f32_i4 v114, v38, src0_sel:BYTE_3
v_cvt_pk_fp8_f32 v113, v39, v114
v_lshrrev_b32 v115, 4, v38
v_cvt_off_f32_i4 v39, v115
v_cvt_off_f32_i4 v114, v115, src0_sel:BYTE_2
v_cvt_pk_fp8_f32 v112, v39, v114, op_sel:[0, 0, 1]
v_cvt_off_f32_i4 v39, v115, src0_sel:BYTE_1
v_cvt_off_f32_i4 v114, v115, src0_sel:BYTE_3
v_cvt_pk_fp8_f32 v113, v39, v114, op_sel:[0, 0, 1]

	;;#ASMEND
	s_nop 0
	v_mov_b32_e32 v38, v183
	;;#ASMSTART
	v_cvt_off_f32_i4 v39, v38
v_cvt_off_f32_i4 v116, v38, src0_sel:BYTE_2
v_cvt_pk_fp8_f32 v114, v39, v116
v_cvt_off_f32_i4 v39, v38, src0_sel:BYTE_1
v_cvt_off_f32_i4 v116, v38, src0_sel:BYTE_3
v_cvt_pk_fp8_f32 v115, v39, v116
v_lshrrev_b32 v117, 4, v38
v_cvt_off_f32_i4 v39, v117
v_cvt_off_f32_i4 v116, v117, src0_sel:BYTE_2
v_cvt_pk_fp8_f32 v114, v39, v116, op_sel:[0, 0, 1]
v_cvt_off_f32_i4 v39, v117, src0_sel:BYTE_1
v_cvt_off_f32_i4 v116, v117, src0_sel:BYTE_3
v_cvt_pk_fp8_f32 v115, v39, v116, op_sel:[0, 0, 1]

	;;#ASMEND
	s_nop 0
	;; [unrolled: 18-line block ×4, first 2 shown]
	v_perm_b32 v38, v162, v173, s13
	v_perm_b32 v39, v170, v90, s13
	v_lshl_or_b32 v58, v39, 16, v38
	v_perm_b32 v38, v161, v174, s13
	v_perm_b32 v39, v172, v171, s13
	v_lshl_or_b32 v59, v39, 16, v38
	;; [unrolled: 3-line block ×3, first 2 shown]
	v_perm_b32 v39, v169, v159, s13
	v_perm_b32 v38, v163, v168, s13
	v_lshlrev_b32_e32 v39, 16, v39
	v_or_b32_e32 v38, v38, v39
	v_perm_b32 v38, v38, v168, s13
	v_or_b32_e32 v163, v38, v39
	v_mov_b32_e32 v38, v60
	;;#ASMSTART
	v_cvt_off_f32_i4 v39, v38
v_cvt_off_f32_i4 v130, v38, src0_sel:BYTE_2
v_cvt_pk_fp8_f32 v128, v39, v130
v_cvt_off_f32_i4 v39, v38, src0_sel:BYTE_1
v_cvt_off_f32_i4 v130, v38, src0_sel:BYTE_3
v_cvt_pk_fp8_f32 v129, v39, v130
v_lshrrev_b32 v131, 4, v38
v_cvt_off_f32_i4 v39, v131
v_cvt_off_f32_i4 v130, v131, src0_sel:BYTE_2
v_cvt_pk_fp8_f32 v128, v39, v130, op_sel:[0, 0, 1]
v_cvt_off_f32_i4 v39, v131, src0_sel:BYTE_1
v_cvt_off_f32_i4 v130, v131, src0_sel:BYTE_3
v_cvt_pk_fp8_f32 v129, v39, v130, op_sel:[0, 0, 1]

	;;#ASMEND
	s_nop 0
	v_mov_b32_e32 v38, v59
	;;#ASMSTART
	v_cvt_off_f32_i4 v39, v38
v_cvt_off_f32_i4 v132, v38, src0_sel:BYTE_2
v_cvt_pk_fp8_f32 v130, v39, v132
v_cvt_off_f32_i4 v39, v38, src0_sel:BYTE_1
v_cvt_off_f32_i4 v132, v38, src0_sel:BYTE_3
v_cvt_pk_fp8_f32 v131, v39, v132
v_lshrrev_b32 v133, 4, v38
v_cvt_off_f32_i4 v39, v133
v_cvt_off_f32_i4 v132, v133, src0_sel:BYTE_2
v_cvt_pk_fp8_f32 v130, v39, v132, op_sel:[0, 0, 1]
v_cvt_off_f32_i4 v39, v133, src0_sel:BYTE_1
v_cvt_off_f32_i4 v132, v133, src0_sel:BYTE_3
v_cvt_pk_fp8_f32 v131, v39, v132, op_sel:[0, 0, 1]

	;;#ASMEND
	s_nop 0
	;; [unrolled: 18-line block ×3, first 2 shown]
	v_mov_b32_e32 v38, v163
	;;#ASMSTART
	v_cvt_off_f32_i4 v39, v38
v_cvt_off_f32_i4 v144, v38, src0_sel:BYTE_2
v_cvt_pk_fp8_f32 v134, v39, v144
v_cvt_off_f32_i4 v39, v38, src0_sel:BYTE_1
v_cvt_off_f32_i4 v144, v38, src0_sel:BYTE_3
v_cvt_pk_fp8_f32 v135, v39, v144
v_lshrrev_b32 v145, 4, v38
v_cvt_off_f32_i4 v39, v145
v_cvt_off_f32_i4 v144, v145, src0_sel:BYTE_2
v_cvt_pk_fp8_f32 v134, v39, v144, op_sel:[0, 0, 1]
v_cvt_off_f32_i4 v39, v145, src0_sel:BYTE_1
v_cvt_off_f32_i4 v144, v145, src0_sel:BYTE_3
v_cvt_pk_fp8_f32 v135, v39, v144, op_sel:[0, 0, 1]

	;;#ASMEND
	; sched_barrier mask(0x00000000)
	flat_load_ubyte v38, v[4:5] offset:304
	flat_load_ubyte v39, v[4:5] offset:320
	;; [unrolled: 1-line block ×7, first 2 shown]
	flat_load_dwordx4 v[144:147], v[4:5] offset:16
	flat_load_dwordx4 v[148:151], v[4:5] offset:32
	;; [unrolled: 1-line block ×7, first 2 shown]
	flat_load_ubyte v63, v[4:5] offset:288
	flat_load_dwordx4 v[124:127], v[4:5]
	; sched_group_barrier mask(0x00000008) size(0) SyncID(0)
	; sched_group_barrier mask(0x00000200) size(1) SyncID(0)
	s_waitcnt vmcnt(0) lgkmcnt(0)
	v_and_b32_e32 v38, 1, v38
	v_and_b32_e32 v39, 1, v39
	;; [unrolled: 1-line block ×7, first 2 shown]
	v_cmp_eq_u32_e32 vcc, 1, v38
	v_cmp_eq_u32_e64 s[0:1], 1, v39
	v_cmp_eq_u32_e64 s[2:3], 1, v160
	;; [unrolled: 1-line block ×6, first 2 shown]
	v_cndmask_b32_e32 v147, 0, v147, vcc
	v_cndmask_b32_e32 v146, 0, v146, vcc
	;; [unrolled: 1-line block ×4, first 2 shown]
	v_cndmask_b32_e64 v149, 0, v149, s[0:1]
	v_cndmask_b32_e64 v148, 0, v148, s[0:1]
	;; [unrolled: 1-line block ×24, first 2 shown]
	flat_store_dwordx4 v[4:5], v[144:147] offset:16
	flat_store_dwordx4 v[4:5], v[148:151] offset:32
	;; [unrolled: 1-line block ×7, first 2 shown]
	flat_load_dwordx2 v[136:137], v[4:5] offset:27
	flat_load_dwordx2 v[140:141], v[4:5] offset:43
	flat_load_dwordx2 v[152:153], v[4:5] offset:59
	flat_load_dwordx2 v[156:157], v[4:5] offset:75
	flat_load_dwordx2 v[168:169], v[4:5] offset:91
	flat_load_dwordx2 v[172:173], v[4:5] offset:107
	v_and_b32_e32 v39, 1, v63
	v_cmp_eq_u32_e32 vcc, 1, v39
	v_perm_b32 v39, v146, v146, s18
	flat_store_byte_d16_hi v[4:5], v146 offset:586
	v_lshrrev_b64 v[138:139], 24, v[148:149]
	v_lshlrev_b32_e32 v146, 8, v150
	v_lshrrev_b64 v[142:143], 24, v[88:89]
	v_lshlrev_b32_e32 v147, 8, v90
	;; [unrolled: 2-line block ×6, first 2 shown]
	v_cndmask_b32_e32 v127, 0, v127, vcc
	v_cndmask_b32_e32 v126, 0, v126, vcc
	;; [unrolled: 1-line block ×4, first 2 shown]
	v_perm_b32 v144, v144, v144, s17
	v_alignbit_b32 v151, v123, v122, 24
	v_lshrrev_b32_e32 v161, 24, v123
	v_or_b32_e32 v139, v139, v146
	v_or_b32_e32 v143, v143, v147
	;; [unrolled: 1-line block ×6, first 2 shown]
	flat_load_dword v38, v[4:5] offset:728
	s_nop 0
	flat_store_dwordx4 v[4:5], v[124:127]
	flat_store_dwordx4 v[4:5], v[124:127] offset:560
	flat_store_short v[4:5], v39 offset:584
	flat_store_dwordx2 v[4:5], v[144:145] offset:576
	flat_store_byte v[4:5], v161 offset:687
	flat_store_dword v[4:5], v151 offset:683
	s_waitcnt vmcnt(0) lgkmcnt(0)
	flat_store_dwordx4 v[4:5], v[136:139] offset:587
	flat_store_dwordx4 v[4:5], v[140:143] offset:603
	;; [unrolled: 1-line block ×6, first 2 shown]
	flat_load_dwordx2 v[144:145], v[8:9] offset:16
	v_ashrrev_i32_e32 v39, 31, v38
	s_waitcnt vmcnt(0) lgkmcnt(0)
	v_lshl_add_u64 v[38:39], v[144:145], 0, v[38:39]
	flat_store_dwordx4 v[38:39], v[124:127]
	flat_load_dword v39, v[4:5] offset:776
	v_mov_b32_e32 v38, v75
	flat_load_dwordx4 v[144:147], v[4:5] offset:748
	s_waitcnt vmcnt(0) lgkmcnt(0)
	flat_load_dword v146, v[4:5] offset:764
	flat_load_dword v151, v[4:5] offset:744
	flat_load_dwordx3 v[148:150], v[4:5] offset:728
	v_add_u32_e32 v39, 1, v39
	flat_store_dwordx2 v[4:5], v[38:39] offset:760
	v_sub_u32_e32 v145, v144, v147
	s_waitcnt vmcnt(0) lgkmcnt(0)
	v_sub_u32_e32 v144, v39, v146
	v_add_u32_e32 v144, v151, v144
	v_ashrrev_i32_e32 v38, 31, v144
	v_lshrrev_b32_e32 v38, 29, v38
	v_add_u32_e32 v38, v144, v38
	v_and_b32_e32 v38, -8, v38
	v_sub_u32_e32 v38, v144, v38
	v_xor_b32_e32 v161, v145, v38
	flat_store_dword v[4:5], v39 offset:776
	v_sub_u32_e32 v39, v144, v150
	v_sub_u32_e32 v38, v161, v149
	v_lshlrev_b32_e32 v39, 7, v39
	v_lshlrev_b32_e32 v38, 4, v38
	v_mov_b32_e32 v162, v144
	v_add3_u32 v160, v39, v38, v148
	flat_store_dwordx2 v[4:5], v[144:145] offset:744
	flat_store_dwordx3 v[4:5], v[160:162] offset:728
	flat_load_dwordx2 v[38:39], v[8:9] offset:16
	s_nop 0
	flat_load_dwordx4 v[144:147], v[4:5] offset:576
	v_ashrrev_i32_e32 v161, 31, v160
	s_waitcnt vmcnt(0) lgkmcnt(0)
	v_lshl_add_u64 v[38:39], v[38:39], 0, v[160:161]
	flat_store_dwordx4 v[38:39], v[144:147]
	flat_load_dword v39, v[4:5] offset:776
	s_nop 0
	flat_load_dwordx4 v[144:147], v[4:5] offset:748
	s_waitcnt vmcnt(0) lgkmcnt(0)
	flat_load_dword v146, v[4:5] offset:764
	flat_load_dword v151, v[4:5] offset:744
	flat_load_dwordx3 v[148:150], v[4:5] offset:728
	v_mov_b32_e32 v38, v75
	v_add_u32_e32 v39, 1, v39
	v_sub_u32_e32 v145, v144, v147
	s_waitcnt vmcnt(0) lgkmcnt(0)
	v_sub_u32_e32 v144, v39, v146
	v_add_u32_e32 v144, v151, v144
	flat_store_dwordx2 v[4:5], v[38:39] offset:760
	v_ashrrev_i32_e32 v38, 31, v144
	v_lshrrev_b32_e32 v38, 29, v38
	v_add_u32_e32 v38, v144, v38
	v_and_b32_e32 v38, -8, v38
	v_sub_u32_e32 v38, v144, v38
	v_xor_b32_e32 v161, v145, v38
	flat_store_dword v[4:5], v39 offset:776
	v_sub_u32_e32 v39, v144, v150
	v_sub_u32_e32 v38, v161, v149
	v_lshlrev_b32_e32 v39, 7, v39
	v_lshlrev_b32_e32 v38, 4, v38
	v_mov_b32_e32 v162, v144
	v_add3_u32 v160, v39, v38, v148
	flat_store_dwordx2 v[4:5], v[144:145] offset:744
	flat_store_dwordx3 v[4:5], v[160:162] offset:728
	flat_load_dwordx2 v[38:39], v[8:9] offset:16
	s_nop 0
	flat_load_dwordx4 v[144:147], v[4:5] offset:592
	v_ashrrev_i32_e32 v161, 31, v160
	s_waitcnt vmcnt(0) lgkmcnt(0)
	v_lshl_add_u64 v[38:39], v[38:39], 0, v[160:161]
	flat_store_dwordx4 v[38:39], v[144:147]
	flat_load_dword v39, v[4:5] offset:776
	s_nop 0
	flat_load_dwordx4 v[144:147], v[4:5] offset:748
	s_waitcnt vmcnt(0) lgkmcnt(0)
	flat_load_dword v146, v[4:5] offset:764
	flat_load_dword v151, v[4:5] offset:744
	flat_load_dwordx3 v[148:150], v[4:5] offset:728
	v_mov_b32_e32 v38, v75
	v_add_u32_e32 v39, 1, v39
	v_sub_u32_e32 v145, v144, v147
	s_waitcnt vmcnt(0) lgkmcnt(0)
	v_sub_u32_e32 v144, v39, v146
	v_add_u32_e32 v144, v151, v144
	flat_store_dwordx2 v[4:5], v[38:39] offset:760
	v_ashrrev_i32_e32 v38, 31, v144
	v_lshrrev_b32_e32 v38, 29, v38
	v_add_u32_e32 v38, v144, v38
	v_and_b32_e32 v38, -8, v38
	v_sub_u32_e32 v38, v144, v38
	v_xor_b32_e32 v161, v145, v38
	flat_store_dword v[4:5], v39 offset:776
	v_sub_u32_e32 v39, v144, v150
	v_sub_u32_e32 v38, v161, v149
	v_lshlrev_b32_e32 v39, 7, v39
	v_lshlrev_b32_e32 v38, 4, v38
	v_mov_b32_e32 v162, v144
	v_add3_u32 v160, v39, v38, v148
	flat_store_dwordx2 v[4:5], v[144:145] offset:744
	flat_store_dwordx3 v[4:5], v[160:162] offset:728
	flat_load_dwordx2 v[38:39], v[8:9] offset:16
	s_nop 0
	flat_load_dwordx4 v[144:147], v[4:5] offset:608
	v_ashrrev_i32_e32 v161, 31, v160
	s_waitcnt vmcnt(0) lgkmcnt(0)
	v_lshl_add_u64 v[38:39], v[38:39], 0, v[160:161]
	flat_store_dwordx4 v[38:39], v[144:147]
	flat_load_dword v39, v[4:5] offset:776
	s_nop 0
	flat_load_dwordx4 v[144:147], v[4:5] offset:748
	s_waitcnt vmcnt(0) lgkmcnt(0)
	flat_load_dword v146, v[4:5] offset:764
	flat_load_dword v151, v[4:5] offset:744
	flat_load_dwordx3 v[148:150], v[4:5] offset:728
	v_mov_b32_e32 v38, v75
	v_add_u32_e32 v39, 1, v39
	v_sub_u32_e32 v145, v144, v147
	s_waitcnt vmcnt(0) lgkmcnt(0)
	v_sub_u32_e32 v144, v39, v146
	v_add_u32_e32 v144, v151, v144
	flat_store_dwordx2 v[4:5], v[38:39] offset:760
	v_ashrrev_i32_e32 v38, 31, v144
	v_lshrrev_b32_e32 v38, 29, v38
	v_add_u32_e32 v38, v144, v38
	v_and_b32_e32 v38, -8, v38
	v_sub_u32_e32 v38, v144, v38
	v_xor_b32_e32 v161, v145, v38
	flat_store_dword v[4:5], v39 offset:776
	v_sub_u32_e32 v39, v144, v150
	v_sub_u32_e32 v38, v161, v149
	v_lshlrev_b32_e32 v39, 7, v39
	v_lshlrev_b32_e32 v38, 4, v38
	v_mov_b32_e32 v162, v144
	v_add3_u32 v160, v39, v38, v148
	flat_store_dwordx2 v[4:5], v[144:145] offset:744
	flat_store_dwordx3 v[4:5], v[160:162] offset:728
	flat_load_dwordx2 v[38:39], v[8:9] offset:16
	s_nop 0
	flat_load_dwordx4 v[144:147], v[4:5] offset:624
	v_ashrrev_i32_e32 v161, 31, v160
	s_waitcnt vmcnt(0) lgkmcnt(0)
	v_lshl_add_u64 v[38:39], v[38:39], 0, v[160:161]
	flat_store_dwordx4 v[38:39], v[144:147]
	flat_load_dword v39, v[4:5] offset:776
	s_nop 0
	flat_load_dwordx4 v[144:147], v[4:5] offset:748
	s_waitcnt vmcnt(0) lgkmcnt(0)
	flat_load_dword v146, v[4:5] offset:764
	flat_load_dword v151, v[4:5] offset:744
	flat_load_dwordx3 v[148:150], v[4:5] offset:728
	v_mov_b32_e32 v38, v75
	v_add_u32_e32 v39, 1, v39
	v_sub_u32_e32 v145, v144, v147
	s_waitcnt vmcnt(0) lgkmcnt(0)
	v_sub_u32_e32 v144, v39, v146
	v_add_u32_e32 v144, v151, v144
	flat_store_dwordx2 v[4:5], v[38:39] offset:760
	v_ashrrev_i32_e32 v38, 31, v144
	v_lshrrev_b32_e32 v38, 29, v38
	v_add_u32_e32 v38, v144, v38
	v_and_b32_e32 v38, -8, v38
	v_sub_u32_e32 v38, v144, v38
	v_xor_b32_e32 v161, v145, v38
	flat_store_dword v[4:5], v39 offset:776
	v_sub_u32_e32 v39, v144, v150
	v_sub_u32_e32 v38, v161, v149
	v_lshlrev_b32_e32 v39, 7, v39
	v_lshlrev_b32_e32 v38, 4, v38
	v_mov_b32_e32 v162, v144
	v_add3_u32 v160, v39, v38, v148
	flat_store_dwordx2 v[4:5], v[144:145] offset:744
	flat_store_dwordx3 v[4:5], v[160:162] offset:728
	flat_load_dwordx2 v[38:39], v[8:9] offset:16
	s_nop 0
	flat_load_dwordx4 v[144:147], v[4:5] offset:640
	v_ashrrev_i32_e32 v161, 31, v160
	s_waitcnt vmcnt(0) lgkmcnt(0)
	v_lshl_add_u64 v[38:39], v[38:39], 0, v[160:161]
	flat_store_dwordx4 v[38:39], v[144:147]
	flat_load_dword v39, v[4:5] offset:776
	s_nop 0
	flat_load_dwordx4 v[144:147], v[4:5] offset:748
	s_waitcnt vmcnt(0) lgkmcnt(0)
	flat_load_dword v146, v[4:5] offset:764
	flat_load_dword v151, v[4:5] offset:744
	flat_load_dwordx3 v[148:150], v[4:5] offset:728
	v_mov_b32_e32 v38, v75
	v_add_u32_e32 v39, 1, v39
	v_sub_u32_e32 v145, v144, v147
	s_waitcnt vmcnt(0) lgkmcnt(0)
	v_sub_u32_e32 v144, v39, v146
	v_add_u32_e32 v144, v151, v144
	flat_store_dwordx2 v[4:5], v[38:39] offset:760
	v_ashrrev_i32_e32 v38, 31, v144
	v_lshrrev_b32_e32 v38, 29, v38
	v_add_u32_e32 v38, v144, v38
	v_and_b32_e32 v38, -8, v38
	v_sub_u32_e32 v38, v144, v38
	v_xor_b32_e32 v161, v145, v38
	flat_store_dword v[4:5], v39 offset:776
	v_sub_u32_e32 v39, v144, v150
	v_sub_u32_e32 v38, v161, v149
	v_lshlrev_b32_e32 v39, 7, v39
	v_lshlrev_b32_e32 v38, 4, v38
	v_mov_b32_e32 v162, v144
	v_add3_u32 v160, v39, v38, v148
	flat_store_dwordx2 v[4:5], v[144:145] offset:744
	flat_store_dwordx3 v[4:5], v[160:162] offset:728
	flat_load_dwordx2 v[38:39], v[8:9] offset:16
	s_nop 0
	flat_load_dwordx4 v[144:147], v[4:5] offset:656
	v_ashrrev_i32_e32 v161, 31, v160
	s_waitcnt vmcnt(0) lgkmcnt(0)
	v_lshl_add_u64 v[38:39], v[38:39], 0, v[160:161]
	flat_store_dwordx4 v[38:39], v[144:147]
	flat_load_dword v39, v[4:5] offset:776
	s_nop 0
	flat_load_dwordx4 v[144:147], v[4:5] offset:748
	s_waitcnt vmcnt(0) lgkmcnt(0)
	flat_load_dword v146, v[4:5] offset:764
	flat_load_dword v151, v[4:5] offset:744
	flat_load_dwordx3 v[148:150], v[4:5] offset:728
	v_mov_b32_e32 v38, v75
	v_add_u32_e32 v39, 1, v39
	v_sub_u32_e32 v145, v144, v147
	s_waitcnt vmcnt(0) lgkmcnt(0)
	v_sub_u32_e32 v144, v39, v146
	v_add_u32_e32 v144, v151, v144
	flat_store_dwordx2 v[4:5], v[38:39] offset:760
	v_ashrrev_i32_e32 v38, 31, v144
	v_lshrrev_b32_e32 v38, 29, v38
	v_add_u32_e32 v38, v144, v38
	v_and_b32_e32 v38, -8, v38
	v_sub_u32_e32 v38, v144, v38
	v_xor_b32_e32 v161, v145, v38
	flat_store_dword v[4:5], v39 offset:776
	v_sub_u32_e32 v39, v144, v150
	v_sub_u32_e32 v38, v161, v149
	v_lshlrev_b32_e32 v39, 7, v39
	v_lshlrev_b32_e32 v38, 4, v38
	v_mov_b32_e32 v162, v144
	v_add3_u32 v160, v39, v38, v148
	flat_store_dwordx2 v[4:5], v[144:145] offset:744
	flat_store_dwordx3 v[4:5], v[160:162] offset:728
	flat_load_dwordx2 v[38:39], v[8:9] offset:16
	v_mov_b32_e32 v150, v75
	flat_load_dwordx4 v[144:147], v[4:5] offset:672
	v_ashrrev_i32_e32 v161, 31, v160
	s_waitcnt vmcnt(0) lgkmcnt(0)
	v_lshl_add_u64 v[38:39], v[38:39], 0, v[160:161]
	flat_store_dwordx4 v[38:39], v[144:147]
	flat_load_dword v147, v[4:5] offset:776
	s_nop 0
	flat_load_dwordx2 v[38:39], v[4:5] offset:760
	flat_load_dwordx2 v[148:149], v[4:5] offset:744
	flat_load_dwordx3 v[144:146], v[4:5] offset:728
	s_waitcnt vmcnt(0) lgkmcnt(0)
	v_add_u32_e32 v151, -7, v147
	flat_store_dword v[4:5], v151 offset:776
	v_sub_u32_e32 v161, v149, v38
	v_sub_u32_e32 v38, v151, v39
	v_add_u32_e32 v160, v148, v38
	v_ashrrev_i32_e32 v38, 31, v160
	v_lshrrev_b32_e32 v38, 29, v38
	v_add_u32_e32 v38, v160, v38
	v_and_b32_e32 v38, -8, v38
	v_sub_u32_e32 v38, v160, v38
	v_xor_b32_e32 v147, v161, v38
	v_sub_u32_e32 v39, v160, v146
	v_sub_u32_e32 v38, v147, v145
	v_lshlrev_b32_e32 v39, 7, v39
	v_lshlrev_b32_e32 v38, 4, v38
	v_mov_b32_e32 v148, v160
	v_add3_u32 v146, v39, v38, v144
	flat_store_dwordx2 v[4:5], v[150:151] offset:760
	flat_store_dwordx2 v[4:5], v[160:161] offset:744
	flat_store_dwordx3 v[4:5], v[146:148] offset:728
	flat_load_dwordx4 a[8:11], v[20:21] offset:128
	flat_load_dwordx4 a[12:15], v[20:21] offset:144
	;; [unrolled: 1-line block ×8, first 2 shown]
	s_waitcnt vmcnt(0) lgkmcnt(0)
	v_mfma_f32_16x16x128_f8f6f4 a[8:11], a[0:7], v[22:29], a[8:11]
	; sched_group_barrier mask(0x00000008) size(1) SyncID(0)
	; sched_group_barrier mask(0x00000100) size(1) SyncID(0)
	;; [unrolled: 1-line block ×4, first 2 shown]
	s_nop 11
	flat_store_dwordx4 v[20:21], a[8:11] offset:128
	v_mfma_f32_16x16x128_f8f6f4 a[12:15], a[0:7], v[30:37], a[12:15]
	; sched_group_barrier mask(0x00000008) size(1) SyncID(0)
	; sched_group_barrier mask(0x00000100) size(1) SyncID(0)
	v_mfma_f32_16x16x128_f8f6f4 a[16:19], a[0:7], v[48:55], a[16:19]
	; sched_group_barrier mask(0x00000008) size(1) SyncID(0)
	; sched_group_barrier mask(0x00000200) size(1) SyncID(0)
	s_nop 10
	flat_store_dwordx4 v[20:21], a[12:15] offset:144
	v_mfma_f32_16x16x128_f8f6f4 a[20:23], a[0:7], v[64:71], a[20:23]
	; sched_group_barrier mask(0x00000008) size(1) SyncID(0)
	; sched_group_barrier mask(0x00000200) size(1) SyncID(0)
	flat_store_dwordx4 v[20:21], a[16:19] offset:160
	v_mfma_f32_16x16x128_f8f6f4 a[24:27], a[0:7], v[80:87], a[24:27]
	; sched_group_barrier mask(0x00000008) size(1) SyncID(0)
	; sched_group_barrier mask(0x00000200) size(1) SyncID(0)
	s_nop 9
	flat_store_dwordx4 v[20:21], a[20:23] offset:176
	v_mfma_f32_16x16x128_f8f6f4 a[28:31], a[0:7], v[96:103], a[28:31]
	; sched_group_barrier mask(0x00000008) size(1) SyncID(0)
	; sched_group_barrier mask(0x00000200) size(1) SyncID(0)
	flat_store_dwordx4 v[20:21], a[24:27] offset:192
	;; [unrolled: 9-line block ×3, first 2 shown]
	s_nop 10
	flat_store_dwordx4 v[20:21], a[0:3] offset:240
	flat_load_dwordx2 v[30:31], v[0:1] offset:1148
	flat_load_dwordx2 v[32:33], v[0:1] offset:1164
	flat_load_dwordx4 v[22:25], v[0:1] offset:1176
	flat_load_dwordx3 v[26:28], v[0:1] offset:1132
	flat_load_dwordx2 v[34:35], v[8:9]
	s_waitcnt vmcnt(0) lgkmcnt(0)
	v_sub_u32_e32 v29, v30, v33
	v_add_u32_e32 v25, 16, v25
	v_add_u32_e32 v22, v32, v22
	v_add3_u32 v23, v29, v23, 64
	v_sub_u32_e32 v30, v31, v32
	v_ashrrev_i32_e32 v29, 31, v25
	v_sub_u32_e32 v22, v31, v22
	v_ashrrev_i32_e32 v31, 31, v23
	v_sub_u32_e32 v28, v23, v28
	v_lshrrev_b32_e32 v29, 28, v29
	v_lshrrev_b32_e32 v31, 29, v31
	v_lshl_add_u32 v26, v28, 7, v26
	v_add_u32_e32 v28, v25, v29
	v_add_u32_e32 v29, v23, v31
	v_lshrrev_b32_e32 v31, 4, v28
	v_and_b32_e32 v29, -8, v29
	v_and_b32_e32 v28, -16, v28
	v_add_u32_e32 v22, v22, v31
	v_sub_u32_e32 v23, v23, v29
	v_sub_u32_e32 v25, v25, v28
	v_xor_b32_e32 v28, v23, v30
	v_xor_b32_e32 v22, v22, v23
	v_sub_u32_e32 v23, v28, v27
	v_sub_u32_e32 v27, v22, v27
	;; [unrolled: 1-line block ×3, first 2 shown]
	v_lshl_add_u32 v22, v23, 4, v26
	v_lshlrev_b32_e32 v26, 4, v27
	v_ashrrev_i32_e32 v23, 31, v22
	v_add3_u32 v24, v24, v25, v26
	v_lshl_add_u64 v[22:23], v[34:35], 0, v[22:23]
	v_ashrrev_i32_e32 v25, 31, v24
	flat_load_dwordx4 a[0:3], v[22:23]
	v_lshl_add_u64 v[22:23], v[34:35], 0, v[24:25]
	flat_load_dwordx4 a[4:7], v[22:23]
	v_mov_b32_e32 v22, v196
	;;#ASMSTART
	v_cvt_off_f32_i4 v23, v22
v_cvt_off_f32_i4 v24, v22, src0_sel:BYTE_2
v_cvt_pk_fp8_f32 v128, v23, v24
v_cvt_off_f32_i4 v23, v22, src0_sel:BYTE_1
v_cvt_off_f32_i4 v24, v22, src0_sel:BYTE_3
v_cvt_pk_fp8_f32 v129, v23, v24
v_lshrrev_b32 v25, 4, v22
v_cvt_off_f32_i4 v23, v25
v_cvt_off_f32_i4 v24, v25, src0_sel:BYTE_2
v_cvt_pk_fp8_f32 v128, v23, v24, op_sel:[0, 0, 1]
v_cvt_off_f32_i4 v23, v25, src0_sel:BYTE_1
v_cvt_off_f32_i4 v24, v25, src0_sel:BYTE_3
v_cvt_pk_fp8_f32 v129, v23, v24, op_sel:[0, 0, 1]

	;;#ASMEND
	s_nop 0
	v_mov_b32_e32 v22, v197
	;;#ASMSTART
	v_cvt_off_f32_i4 v23, v22
v_cvt_off_f32_i4 v24, v22, src0_sel:BYTE_2
v_cvt_pk_fp8_f32 v130, v23, v24
v_cvt_off_f32_i4 v23, v22, src0_sel:BYTE_1
v_cvt_off_f32_i4 v24, v22, src0_sel:BYTE_3
v_cvt_pk_fp8_f32 v131, v23, v24
v_lshrrev_b32 v25, 4, v22
v_cvt_off_f32_i4 v23, v25
v_cvt_off_f32_i4 v24, v25, src0_sel:BYTE_2
v_cvt_pk_fp8_f32 v130, v23, v24, op_sel:[0, 0, 1]
v_cvt_off_f32_i4 v23, v25, src0_sel:BYTE_1
v_cvt_off_f32_i4 v24, v25, src0_sel:BYTE_3
v_cvt_pk_fp8_f32 v131, v23, v24, op_sel:[0, 0, 1]

	;;#ASMEND
	s_nop 0
	;; [unrolled: 18-line block ×31, first 2 shown]
	v_mov_b32_e32 v38, v163
	;;#ASMSTART
	v_cvt_off_f32_i4 v39, v38
v_cvt_off_f32_i4 v144, v38, src0_sel:BYTE_2
v_cvt_pk_fp8_f32 v102, v39, v144
v_cvt_off_f32_i4 v39, v38, src0_sel:BYTE_1
v_cvt_off_f32_i4 v144, v38, src0_sel:BYTE_3
v_cvt_pk_fp8_f32 v103, v39, v144
v_lshrrev_b32 v145, 4, v38
v_cvt_off_f32_i4 v39, v145
v_cvt_off_f32_i4 v144, v145, src0_sel:BYTE_2
v_cvt_pk_fp8_f32 v102, v39, v144, op_sel:[0, 0, 1]
v_cvt_off_f32_i4 v39, v145, src0_sel:BYTE_1
v_cvt_off_f32_i4 v144, v145, src0_sel:BYTE_3
v_cvt_pk_fp8_f32 v103, v39, v144, op_sel:[0, 0, 1]

	;;#ASMEND
	; sched_barrier mask(0x00000000)
	s_nop 0
	v_mov_b32_e32 v38, 1
	flat_store_byte v[4:5], v38 offset:288
	flat_load_dwordx4 v[144:147], v[6:7]
	s_waitcnt vmcnt(0) lgkmcnt(0)
	v_mov_b32_e32 v147, v77
	flat_load_dwordx2 v[38:39], v[4:5] offset:704
	s_mov_b64 s[2:3], exec
	v_and_b32_e32 v145, 0xffff, v145
	s_waitcnt vmcnt(0)
.LBB3_83:                               ;   Parent Loop BB3_64 Depth=1
                                        ; =>  This Inner Loop Header: Depth=2
	v_readfirstlane_b32 s4, v144
	v_readfirstlane_b32 s5, v145
	;; [unrolled: 1-line block ×4, first 2 shown]
	v_cmp_eq_u64_e32 vcc, s[4:5], v[144:145]
	s_nop 0
	v_cmp_eq_u64_e64 s[0:1], s[6:7], v[146:147]
	s_and_b64 s[0:1], vcc, s[0:1]
	s_and_saveexec_b64 s[0:1], s[0:1]
	s_waitcnt lgkmcnt(0)
	buffer_load_dwordx4 v[148:151], v38, s[4:7], 0 offen
                                        ; implicit-def: $vgpr144_vgpr145_vgpr146_vgpr147
	s_xor_b64 exec, exec, s[0:1]
	s_cbranch_execnz .LBB3_83
; %bb.84:                               ;   in Loop: Header=BB3_64 Depth=1
	s_mov_b64 exec, s[2:3]
	flat_load_dwordx3 v[160:162], v[4:5] offset:716
	v_add_u32_e32 v144, 1, v39
	flat_store_dword v[4:5], v144 offset:708
	s_waitcnt vmcnt(0)
	flat_store_dwordx4 v[4:5], v[148:151]
	v_mov_b32_e32 v145, 1
	flat_store_byte v[4:5], v145 offset:304
	s_mov_b64 s[2:3], exec
	s_waitcnt lgkmcnt(0)
	v_add_u32_e32 v144, 1, v162
	flat_store_dword v[4:5], v144 offset:724
	flat_load_dword v144, v[2:3] offset:8
	s_waitcnt vmcnt(0) lgkmcnt(0)
	v_add_u32_e32 v38, v144, v38
	flat_store_dword v[4:5], v38 offset:704
	flat_load_dwordx4 v[144:147], v[6:7]
	s_waitcnt vmcnt(0) lgkmcnt(0)
	v_mov_b32_e32 v147, v77
	v_and_b32_e32 v145, 0xffff, v145
.LBB3_85:                               ;   Parent Loop BB3_64 Depth=1
                                        ; =>  This Inner Loop Header: Depth=2
	v_readfirstlane_b32 s4, v144
	v_readfirstlane_b32 s5, v145
	v_readfirstlane_b32 s6, v146
	v_readfirstlane_b32 s7, v147
	v_cmp_eq_u64_e32 vcc, s[4:5], v[144:145]
	s_nop 0
	v_cmp_eq_u64_e64 s[0:1], s[6:7], v[146:147]
	s_and_b64 s[0:1], vcc, s[0:1]
	s_and_saveexec_b64 s[0:1], s[0:1]
	buffer_load_dwordx4 v[148:151], v38, s[4:7], 0 offen
                                        ; implicit-def: $vgpr144_vgpr145_vgpr146_vgpr147
	s_xor_b64 exec, exec, s[0:1]
	s_cbranch_execnz .LBB3_85
; %bb.86:                               ;   in Loop: Header=BB3_64 Depth=1
	s_mov_b64 exec, s[2:3]
	v_add_u32_e32 v144, 2, v162
	flat_store_dword v[4:5], v144 offset:724
	v_add_u32_e32 v144, 2, v39
	s_waitcnt vmcnt(0)
	flat_store_dwordx4 v[4:5], v[148:151] offset:16
	flat_store_dword v[4:5], v144 offset:708
	flat_load_dword v144, v[2:3] offset:8
	v_mov_b32_e32 v145, 1
	flat_store_byte v[4:5], v145 offset:320
	s_mov_b64 s[2:3], exec
	s_waitcnt vmcnt(0) lgkmcnt(0)
	v_add_u32_e32 v38, v144, v38
	flat_store_dword v[4:5], v38 offset:704
	flat_load_dwordx4 v[144:147], v[6:7]
	s_waitcnt vmcnt(0) lgkmcnt(0)
	v_mov_b32_e32 v147, v77
	v_and_b32_e32 v145, 0xffff, v145
.LBB3_87:                               ;   Parent Loop BB3_64 Depth=1
                                        ; =>  This Inner Loop Header: Depth=2
	v_readfirstlane_b32 s4, v144
	v_readfirstlane_b32 s5, v145
	v_readfirstlane_b32 s6, v146
	v_readfirstlane_b32 s7, v147
	v_cmp_eq_u64_e32 vcc, s[4:5], v[144:145]
	s_nop 0
	v_cmp_eq_u64_e64 s[0:1], s[6:7], v[146:147]
	s_and_b64 s[0:1], vcc, s[0:1]
	s_and_saveexec_b64 s[0:1], s[0:1]
	buffer_load_dwordx4 v[148:151], v38, s[4:7], 0 offen
                                        ; implicit-def: $vgpr144_vgpr145_vgpr146_vgpr147
	s_xor_b64 exec, exec, s[0:1]
	s_cbranch_execnz .LBB3_87
; %bb.88:                               ;   in Loop: Header=BB3_64 Depth=1
	s_mov_b64 exec, s[2:3]
	v_add_u32_e32 v144, 3, v162
	flat_store_dword v[4:5], v144 offset:724
	v_add_u32_e32 v144, 3, v39
	s_waitcnt vmcnt(0)
	flat_store_dwordx4 v[4:5], v[148:151] offset:32
	flat_store_dword v[4:5], v144 offset:708
	flat_load_dword v144, v[2:3] offset:8
	v_mov_b32_e32 v145, 1
	flat_store_byte v[4:5], v145 offset:336
	s_mov_b64 s[2:3], exec
	;; [unrolled: 34-line block ×5, first 2 shown]
	s_waitcnt vmcnt(0) lgkmcnt(0)
	v_add_u32_e32 v38, v144, v38
	flat_store_dword v[4:5], v38 offset:704
	flat_load_dwordx4 v[144:147], v[6:7]
	s_waitcnt vmcnt(0) lgkmcnt(0)
	v_mov_b32_e32 v147, v77
	v_and_b32_e32 v145, 0xffff, v145
.LBB3_95:                               ;   Parent Loop BB3_64 Depth=1
                                        ; =>  This Inner Loop Header: Depth=2
	v_readfirstlane_b32 s4, v144
	v_readfirstlane_b32 s5, v145
	;; [unrolled: 1-line block ×4, first 2 shown]
	v_cmp_eq_u64_e32 vcc, s[4:5], v[144:145]
	s_nop 0
	v_cmp_eq_u64_e64 s[0:1], s[6:7], v[146:147]
	s_and_b64 s[0:1], vcc, s[0:1]
	s_and_saveexec_b64 s[0:1], s[0:1]
	buffer_load_dwordx4 v[148:151], v38, s[4:7], 0 offen
                                        ; implicit-def: $vgpr144_vgpr145_vgpr146_vgpr147
	s_xor_b64 exec, exec, s[0:1]
	s_cbranch_execnz .LBB3_95
; %bb.96:                               ;   in Loop: Header=BB3_64 Depth=1
	s_mov_b64 exec, s[2:3]
	v_add_u32_e32 v144, 7, v162
	flat_store_dword v[4:5], v144 offset:724
	v_add_u32_e32 v144, 7, v39
	s_waitcnt vmcnt(0)
	flat_store_dwordx4 v[4:5], v[148:151] offset:96
	flat_store_dword v[4:5], v144 offset:708
	flat_load_dword v144, v[2:3] offset:8
	s_mov_b64 s[2:3], exec
	s_waitcnt vmcnt(0) lgkmcnt(0)
	v_add_u32_e32 v61, v144, v38
	flat_store_dword v[4:5], v61 offset:704
	flat_load_dwordx4 v[144:147], v[6:7]
	v_mov_b32_e32 v38, 1
	s_waitcnt vmcnt(0) lgkmcnt(0)
	v_mov_b32_e32 v147, v77
	flat_store_byte v[4:5], v38 offset:400
	v_and_b32_e32 v145, 0xffff, v145
.LBB3_97:                               ;   Parent Loop BB3_64 Depth=1
                                        ; =>  This Inner Loop Header: Depth=2
	v_readfirstlane_b32 s4, v144
	v_readfirstlane_b32 s5, v145
	;; [unrolled: 1-line block ×4, first 2 shown]
	v_cmp_eq_u64_e32 vcc, s[4:5], v[144:145]
	s_nop 0
	v_cmp_eq_u64_e64 s[0:1], s[6:7], v[146:147]
	s_and_b64 s[0:1], vcc, s[0:1]
	s_and_saveexec_b64 s[0:1], s[0:1]
	buffer_load_dwordx4 v[148:151], v61, s[4:7], 0 offen
                                        ; implicit-def: $vgpr144_vgpr145_vgpr146_vgpr147
	s_xor_b64 exec, exec, s[0:1]
	s_cbranch_execnz .LBB3_97
; %bb.98:                               ;   in Loop: Header=BB3_64 Depth=1
	s_mov_b64 exec, s[2:3]
	v_accvgpr_read_b32 v145, a45
	s_waitcnt vmcnt(0)
	flat_store_dwordx4 v[4:5], v[148:151] offset:112
	v_accvgpr_read_b32 v144, a44
	flat_load_dwordx3 v[144:146], v[144:145]
	s_waitcnt vmcnt(0) lgkmcnt(0)
	v_add_u32_e32 v147, -7, v145
	v_add_u32_e32 v150, v145, v162
	v_add_u32_e32 v149, v161, v146
	v_add_u32_e32 v148, v160, v144
	v_cmp_ne_u32_e32 vcc, 0, v147
	flat_store_dwordx3 v[4:5], v[148:150] offset:716
	s_and_saveexec_b64 s[0:1], vcc
	s_cbranch_execz .LBB3_100
; %bb.99:                               ;   in Loop: Header=BB3_64 Depth=1
	v_add_u32_e32 v38, v145, v39
	flat_store_dword v[4:5], v38 offset:708
.LBB3_100:                              ;   in Loop: Header=BB3_64 Depth=1
	s_or_b64 exec, exec, s[0:1]
	v_or_b32_e32 v145, v146, v144
	v_mov_b32_e32 v38, 0
	v_cmp_ne_u32_e32 vcc, 0, v145
	s_and_saveexec_b64 s[0:1], vcc
	s_cbranch_execz .LBB3_102
; %bb.101:                              ;   in Loop: Header=BB3_64 Depth=1
	flat_load_dword v39, v[2:3] offset:24
	flat_load_dword v148, v[4:5] offset:712
	v_mov_b32_e32 v38, v146
	s_waitcnt vmcnt(0) lgkmcnt(0)
	v_mad_u64_u32 v[38:39], s[2:3], v39, v144, v[38:39]
	v_add_u32_e32 v39, v38, v148
	flat_store_dword v[4:5], v39 offset:712
.LBB3_102:                              ;   in Loop: Header=BB3_64 Depth=1
	s_or_b64 exec, exec, s[0:1]
	v_or_b32_e32 v39, v145, v147
	v_cmp_ne_u32_e32 vcc, 0, v39
	s_and_saveexec_b64 s[0:1], vcc
	s_cbranch_execz .LBB3_104
; %bb.103:                              ;   in Loop: Header=BB3_64 Depth=1
	flat_load_dword v39, v[2:3] offset:8
	s_waitcnt vmcnt(0) lgkmcnt(0)
	v_mul_lo_u32 v39, v39, v147
	v_add3_u32 v38, v38, v61, v39
	flat_store_dword v[4:5], v38 offset:704
.LBB3_104:                              ;   in Loop: Header=BB3_64 Depth=1
	s_or_b64 exec, exec, s[0:1]
	flat_load_dwordx4 a[8:11], v[20:21] offset:256
	; sched_group_barrier mask(0x00000008) size(0) SyncID(0)
	; sched_group_barrier mask(0x00000020) size(1) SyncID(0)
	s_waitcnt vmcnt(0) lgkmcnt(0)
	v_mfma_f32_16x16x128_f8f6f4 a[8:11], a[0:7], v[128:135], a[8:11]
	flat_load_dwordx4 a[12:15], v[20:21] offset:272
	; sched_group_barrier mask(0x00000008) size(1) SyncID(0)
	; sched_group_barrier mask(0x00000100) size(1) SyncID(0)
	;; [unrolled: 1-line block ×4, first 2 shown]
	s_nop 10
	flat_store_dwordx4 v[20:21], a[8:11] offset:256
	s_waitcnt vmcnt(0) lgkmcnt(0)
	v_mfma_f32_16x16x128_f8f6f4 a[12:15], a[0:7], v[112:119], a[12:15]
	flat_load_dwordx4 a[16:19], v[20:21] offset:368
	; sched_group_barrier mask(0x00000008) size(1) SyncID(0)
	; sched_group_barrier mask(0x00000100) size(1) SyncID(0)
	s_nop 10
	flat_store_dwordx4 v[20:21], a[12:15] offset:272
	s_waitcnt vmcnt(0) lgkmcnt(0)
	v_mfma_f32_16x16x128_f8f6f4 a[16:19], a[0:7], v[96:103], a[16:19]
	flat_load_dwordx4 a[20:23], v[20:21] offset:288
	s_nop 10
	flat_store_dwordx4 v[20:21], a[16:19] offset:368
	s_waitcnt vmcnt(0) lgkmcnt(0)
	v_mfma_f32_16x16x128_f8f6f4 a[20:23], a[0:7], v[22:29], a[20:23]
	flat_load_dwordx4 a[24:27], v[20:21] offset:304
	;; [unrolled: 5-line block ×5, first 2 shown]
	s_nop 10
	flat_store_dwordx4 v[20:21], a[32:35] offset:336
	s_waitcnt vmcnt(0) lgkmcnt(0)
	v_mfma_f32_16x16x128_f8f6f4 a[0:3], a[0:7], v[64:71], a[36:39]
	; sched_group_barrier mask(0x00000008) size(1) SyncID(0)
	; sched_group_barrier mask(0x00000020) size(1) SyncID(0)
	;; [unrolled: 1-line block ×12, first 2 shown]
	s_nop 11
	flat_store_dwordx4 v[20:21], a[0:3] offset:352
	flat_load_dwordx2 v[30:31], v[0:1] offset:1148
	flat_load_dwordx2 v[32:33], v[0:1] offset:1164
	flat_load_dwordx4 v[22:25], v[0:1] offset:1176
	flat_load_dwordx3 v[26:28], v[0:1] offset:1132
	flat_load_dwordx2 v[34:35], v[8:9]
	s_waitcnt vmcnt(0) lgkmcnt(0)
	v_sub_u32_e32 v29, v30, v33
	v_add_u32_e32 v25, 16, v25
	v_add_u32_e32 v22, v32, v22
	v_add3_u32 v23, v29, v23, s19
	v_sub_u32_e32 v30, v31, v32
	v_ashrrev_i32_e32 v29, 31, v25
	v_sub_u32_e32 v22, v31, v22
	v_ashrrev_i32_e32 v31, 31, v23
	v_sub_u32_e32 v28, v23, v28
	v_lshrrev_b32_e32 v29, 28, v29
	v_lshrrev_b32_e32 v31, 29, v31
	v_lshl_add_u32 v26, v28, 7, v26
	v_add_u32_e32 v28, v25, v29
	v_add_u32_e32 v29, v23, v31
	v_lshrrev_b32_e32 v31, 4, v28
	v_and_b32_e32 v29, -8, v29
	v_and_b32_e32 v28, -16, v28
	v_add_u32_e32 v22, v22, v31
	v_sub_u32_e32 v23, v23, v29
	v_sub_u32_e32 v25, v25, v28
	v_xor_b32_e32 v28, v23, v30
	v_xor_b32_e32 v22, v22, v23
	v_sub_u32_e32 v23, v28, v27
	v_sub_u32_e32 v27, v22, v27
	;; [unrolled: 1-line block ×3, first 2 shown]
	v_lshl_add_u32 v22, v23, 4, v26
	v_lshlrev_b32_e32 v26, 4, v27
	v_ashrrev_i32_e32 v23, 31, v22
	v_add3_u32 v24, v24, v25, v26
	v_lshl_add_u64 v[22:23], v[34:35], 0, v[22:23]
	v_ashrrev_i32_e32 v25, 31, v24
	flat_load_dwordx4 v[88:91], v[22:23]
	v_lshl_add_u64 v[22:23], v[34:35], 0, v[24:25]
	flat_load_dwordx4 v[92:95], v[22:23]
	v_mov_b32_e32 v24, v196
	;;#ASMSTART
	v_cvt_off_f32_i4 v25, v24
v_cvt_off_f32_i4 v26, v24, src0_sel:BYTE_2
v_cvt_pk_fp8_f32 v22, v25, v26
v_cvt_off_f32_i4 v25, v24, src0_sel:BYTE_1
v_cvt_off_f32_i4 v26, v24, src0_sel:BYTE_3
v_cvt_pk_fp8_f32 v23, v25, v26
v_lshrrev_b32 v27, 4, v24
v_cvt_off_f32_i4 v25, v27
v_cvt_off_f32_i4 v26, v27, src0_sel:BYTE_2
v_cvt_pk_fp8_f32 v22, v25, v26, op_sel:[0, 0, 1]
v_cvt_off_f32_i4 v25, v27, src0_sel:BYTE_1
v_cvt_off_f32_i4 v26, v27, src0_sel:BYTE_3
v_cvt_pk_fp8_f32 v23, v25, v26, op_sel:[0, 0, 1]

	;;#ASMEND
	s_nop 0
	v_mov_b32_e32 v26, v197
	;;#ASMSTART
	v_cvt_off_f32_i4 v27, v26
v_cvt_off_f32_i4 v28, v26, src0_sel:BYTE_2
v_cvt_pk_fp8_f32 v24, v27, v28
v_cvt_off_f32_i4 v27, v26, src0_sel:BYTE_1
v_cvt_off_f32_i4 v28, v26, src0_sel:BYTE_3
v_cvt_pk_fp8_f32 v25, v27, v28
v_lshrrev_b32 v29, 4, v26
v_cvt_off_f32_i4 v27, v29
v_cvt_off_f32_i4 v28, v29, src0_sel:BYTE_2
v_cvt_pk_fp8_f32 v24, v27, v28, op_sel:[0, 0, 1]
v_cvt_off_f32_i4 v27, v29, src0_sel:BYTE_1
v_cvt_off_f32_i4 v28, v29, src0_sel:BYTE_3
v_cvt_pk_fp8_f32 v25, v27, v28, op_sel:[0, 0, 1]

	;;#ASMEND
	s_nop 0
	;; [unrolled: 18-line block ×31, first 2 shown]
	v_mov_b32_e32 v38, v163
	;;#ASMSTART
	v_cvt_off_f32_i4 v39, v38
v_cvt_off_f32_i4 v144, v38, src0_sel:BYTE_2
v_cvt_pk_fp8_f32 v134, v39, v144
v_cvt_off_f32_i4 v39, v38, src0_sel:BYTE_1
v_cvt_off_f32_i4 v144, v38, src0_sel:BYTE_3
v_cvt_pk_fp8_f32 v135, v39, v144
v_lshrrev_b32 v145, 4, v38
v_cvt_off_f32_i4 v39, v145
v_cvt_off_f32_i4 v144, v145, src0_sel:BYTE_2
v_cvt_pk_fp8_f32 v134, v39, v144, op_sel:[0, 0, 1]
v_cvt_off_f32_i4 v39, v145, src0_sel:BYTE_1
v_cvt_off_f32_i4 v144, v145, src0_sel:BYTE_3
v_cvt_pk_fp8_f32 v135, v39, v144, op_sel:[0, 0, 1]

	;;#ASMEND
	; sched_barrier mask(0x00000000)
	flat_load_dwordx4 a[0:3], v[20:21] offset:384
	flat_load_dwordx4 a[4:7], v[20:21] offset:400
	;; [unrolled: 1-line block ×8, first 2 shown]
	s_waitcnt vmcnt(0) lgkmcnt(0)
	v_mfma_f32_16x16x128_f8f6f4 a[0:3], v[88:95], v[22:29], a[0:3]
	s_nop 11
	flat_store_dwordx4 v[20:21], a[0:3] offset:384
	v_mfma_f32_16x16x128_f8f6f4 a[4:7], v[88:95], v[30:37], a[4:7]
	v_mfma_f32_16x16x128_f8f6f4 a[8:11], v[88:95], v[48:55], a[8:11]
	s_nop 10
	flat_store_dwordx4 v[20:21], a[4:7] offset:400
	v_mfma_f32_16x16x128_f8f6f4 a[12:15], v[88:95], v[64:71], a[12:15]
	; sched_group_barrier mask(0x00000008) size(4) SyncID(0)
	; sched_group_barrier mask(0x00000100) size(1) SyncID(0)
	flat_store_dwordx4 v[20:21], a[8:11] offset:416
	v_mfma_f32_16x16x128_f8f6f4 a[16:19], v[88:95], v[80:87], a[16:19]
	s_nop 9
	flat_store_dwordx4 v[20:21], a[12:15] offset:432
	v_mfma_f32_16x16x128_f8f6f4 a[20:23], v[88:95], v[96:103], a[20:23]
	flat_store_dwordx4 v[20:21], a[16:19] offset:448
	v_mfma_f32_16x16x128_f8f6f4 a[24:27], v[88:95], v[112:119], a[24:27]
	s_nop 9
	flat_store_dwordx4 v[20:21], a[20:23] offset:464
	v_mfma_f32_16x16x128_f8f6f4 a[28:31], v[88:95], v[128:135], a[28:31]
	; sched_group_barrier mask(0x00000008) size(4) SyncID(0)
	; sched_group_barrier mask(0x00000100) size(1) SyncID(0)
	flat_store_dwordx4 v[20:21], a[24:27] offset:480
	s_nop 10
	flat_store_dwordx4 v[20:21], a[28:31] offset:496
	flat_load_dwordx2 v[30:31], v[0:1] offset:1148
	flat_load_dwordx2 v[32:33], v[0:1] offset:1164
	flat_load_dwordx4 v[22:25], v[0:1] offset:1176
	flat_load_dwordx3 v[26:28], v[0:1] offset:1132
	flat_load_dwordx2 v[34:35], v[8:9]
	s_waitcnt vmcnt(0) lgkmcnt(0)
	v_sub_u32_e32 v29, v30, v33
	v_add_u32_e32 v25, 16, v25
	v_add_u32_e32 v22, v32, v22
	v_add3_u32 v23, v29, v23, s20
	v_sub_u32_e32 v30, v31, v32
	v_ashrrev_i32_e32 v29, 31, v25
	v_sub_u32_e32 v22, v31, v22
	v_ashrrev_i32_e32 v31, 31, v23
	v_sub_u32_e32 v28, v23, v28
	v_lshrrev_b32_e32 v29, 28, v29
	v_lshrrev_b32_e32 v31, 29, v31
	v_lshl_add_u32 v26, v28, 7, v26
	v_add_u32_e32 v28, v25, v29
	v_add_u32_e32 v29, v23, v31
	v_lshrrev_b32_e32 v31, 4, v28
	v_and_b32_e32 v29, -8, v29
	v_and_b32_e32 v28, -16, v28
	v_add_u32_e32 v22, v22, v31
	v_sub_u32_e32 v23, v23, v29
	v_sub_u32_e32 v25, v25, v28
	v_xor_b32_e32 v28, v23, v30
	v_xor_b32_e32 v22, v22, v23
	v_sub_u32_e32 v23, v28, v27
	v_sub_u32_e32 v27, v22, v27
	;; [unrolled: 1-line block ×3, first 2 shown]
	v_lshl_add_u32 v22, v23, 4, v26
	v_lshlrev_b32_e32 v26, 4, v27
	v_ashrrev_i32_e32 v23, 31, v22
	v_add3_u32 v24, v24, v25, v26
	v_lshl_add_u64 v[22:23], v[34:35], 0, v[22:23]
	v_ashrrev_i32_e32 v25, 31, v24
	flat_load_dwordx4 v[88:91], v[22:23]
	v_lshl_add_u64 v[22:23], v[34:35], 0, v[24:25]
	flat_load_dwordx4 v[92:95], v[22:23]
	v_mov_b32_e32 v24, v196
	;;#ASMSTART
	v_cvt_off_f32_i4 v25, v24
v_cvt_off_f32_i4 v26, v24, src0_sel:BYTE_2
v_cvt_pk_fp8_f32 v22, v25, v26
v_cvt_off_f32_i4 v25, v24, src0_sel:BYTE_1
v_cvt_off_f32_i4 v26, v24, src0_sel:BYTE_3
v_cvt_pk_fp8_f32 v23, v25, v26
v_lshrrev_b32 v27, 4, v24
v_cvt_off_f32_i4 v25, v27
v_cvt_off_f32_i4 v26, v27, src0_sel:BYTE_2
v_cvt_pk_fp8_f32 v22, v25, v26, op_sel:[0, 0, 1]
v_cvt_off_f32_i4 v25, v27, src0_sel:BYTE_1
v_cvt_off_f32_i4 v26, v27, src0_sel:BYTE_3
v_cvt_pk_fp8_f32 v23, v25, v26, op_sel:[0, 0, 1]

	;;#ASMEND
	s_nop 0
	v_mov_b32_e32 v26, v197
	;;#ASMSTART
	v_cvt_off_f32_i4 v27, v26
v_cvt_off_f32_i4 v28, v26, src0_sel:BYTE_2
v_cvt_pk_fp8_f32 v24, v27, v28
v_cvt_off_f32_i4 v27, v26, src0_sel:BYTE_1
v_cvt_off_f32_i4 v28, v26, src0_sel:BYTE_3
v_cvt_pk_fp8_f32 v25, v27, v28
v_lshrrev_b32 v29, 4, v26
v_cvt_off_f32_i4 v27, v29
v_cvt_off_f32_i4 v28, v29, src0_sel:BYTE_2
v_cvt_pk_fp8_f32 v24, v27, v28, op_sel:[0, 0, 1]
v_cvt_off_f32_i4 v27, v29, src0_sel:BYTE_1
v_cvt_off_f32_i4 v28, v29, src0_sel:BYTE_3
v_cvt_pk_fp8_f32 v25, v27, v28, op_sel:[0, 0, 1]

	;;#ASMEND
	s_nop 0
	;; [unrolled: 18-line block ×31, first 2 shown]
	v_mov_b32_e32 v38, v163
	;;#ASMSTART
	v_cvt_off_f32_i4 v39, v38
v_cvt_off_f32_i4 v144, v38, src0_sel:BYTE_2
v_cvt_pk_fp8_f32 v134, v39, v144
v_cvt_off_f32_i4 v39, v38, src0_sel:BYTE_1
v_cvt_off_f32_i4 v144, v38, src0_sel:BYTE_3
v_cvt_pk_fp8_f32 v135, v39, v144
v_lshrrev_b32 v145, 4, v38
v_cvt_off_f32_i4 v39, v145
v_cvt_off_f32_i4 v144, v145, src0_sel:BYTE_2
v_cvt_pk_fp8_f32 v134, v39, v144, op_sel:[0, 0, 1]
v_cvt_off_f32_i4 v39, v145, src0_sel:BYTE_1
v_cvt_off_f32_i4 v144, v145, src0_sel:BYTE_3
v_cvt_pk_fp8_f32 v135, v39, v144, op_sel:[0, 0, 1]

	;;#ASMEND
	; sched_barrier mask(0x00000000)
	flat_load_dwordx4 a[0:3], v[20:21] offset:512
	flat_load_dwordx4 a[4:7], v[20:21] offset:528
	;; [unrolled: 1-line block ×8, first 2 shown]
	s_waitcnt vmcnt(0) lgkmcnt(0)
	v_mfma_f32_16x16x128_f8f6f4 a[0:3], v[88:95], v[22:29], a[0:3]
	s_nop 11
	flat_store_dwordx4 v[20:21], a[0:3] offset:512
	v_mfma_f32_16x16x128_f8f6f4 a[4:7], v[88:95], v[30:37], a[4:7]
	v_mfma_f32_16x16x128_f8f6f4 a[8:11], v[88:95], v[48:55], a[8:11]
	s_nop 10
	flat_store_dwordx4 v[20:21], a[4:7] offset:528
	v_mfma_f32_16x16x128_f8f6f4 a[12:15], v[88:95], v[64:71], a[12:15]
	; sched_group_barrier mask(0x00000008) size(4) SyncID(0)
	; sched_group_barrier mask(0x00000100) size(1) SyncID(0)
	flat_store_dwordx4 v[20:21], a[8:11] offset:544
	v_mfma_f32_16x16x128_f8f6f4 a[16:19], v[88:95], v[80:87], a[16:19]
	s_nop 9
	flat_store_dwordx4 v[20:21], a[12:15] offset:560
	v_mfma_f32_16x16x128_f8f6f4 a[20:23], v[88:95], v[96:103], a[20:23]
	flat_store_dwordx4 v[20:21], a[16:19] offset:576
	v_mfma_f32_16x16x128_f8f6f4 a[24:27], v[88:95], v[112:119], a[24:27]
	s_nop 9
	flat_store_dwordx4 v[20:21], a[20:23] offset:592
	v_mfma_f32_16x16x128_f8f6f4 a[28:31], v[88:95], v[128:135], a[28:31]
	; sched_group_barrier mask(0x00000008) size(4) SyncID(0)
	; sched_group_barrier mask(0x00000100) size(1) SyncID(0)
	flat_store_dwordx4 v[20:21], a[24:27] offset:608
	s_nop 10
	flat_store_dwordx4 v[20:21], a[28:31] offset:624
	flat_load_dwordx2 v[30:31], v[0:1] offset:1148
	flat_load_dwordx2 v[32:33], v[0:1] offset:1164
	flat_load_dwordx4 v[22:25], v[0:1] offset:1176
	flat_load_dwordx3 v[26:28], v[0:1] offset:1132
	flat_load_dwordx2 v[34:35], v[8:9]
	s_waitcnt vmcnt(0) lgkmcnt(0)
	v_sub_u32_e32 v29, v30, v33
	v_add_u32_e32 v25, 16, v25
	v_add_u32_e32 v22, v32, v22
	v_add3_u32 v23, v29, v23, s21
	v_sub_u32_e32 v30, v31, v32
	v_ashrrev_i32_e32 v29, 31, v25
	v_sub_u32_e32 v22, v31, v22
	v_ashrrev_i32_e32 v31, 31, v23
	v_sub_u32_e32 v28, v23, v28
	v_lshrrev_b32_e32 v29, 28, v29
	v_lshrrev_b32_e32 v31, 29, v31
	v_lshl_add_u32 v26, v28, 7, v26
	v_add_u32_e32 v28, v25, v29
	v_add_u32_e32 v29, v23, v31
	v_lshrrev_b32_e32 v31, 4, v28
	v_and_b32_e32 v29, -8, v29
	v_and_b32_e32 v28, -16, v28
	v_add_u32_e32 v22, v22, v31
	v_sub_u32_e32 v23, v23, v29
	v_sub_u32_e32 v25, v25, v28
	v_xor_b32_e32 v28, v23, v30
	v_xor_b32_e32 v22, v22, v23
	v_sub_u32_e32 v23, v28, v27
	v_sub_u32_e32 v27, v22, v27
	v_sub_u32_e32 v24, v26, v24
	v_lshl_add_u32 v22, v23, 4, v26
	v_lshlrev_b32_e32 v26, 4, v27
	v_ashrrev_i32_e32 v23, 31, v22
	v_add3_u32 v24, v24, v25, v26
	v_lshl_add_u64 v[22:23], v[34:35], 0, v[22:23]
	v_ashrrev_i32_e32 v25, 31, v24
	flat_load_dwordx4 v[88:91], v[22:23]
	v_lshl_add_u64 v[22:23], v[34:35], 0, v[24:25]
	flat_load_dwordx4 v[92:95], v[22:23]
	v_mov_b32_e32 v24, v196
	;;#ASMSTART
	v_cvt_off_f32_i4 v25, v24
v_cvt_off_f32_i4 v26, v24, src0_sel:BYTE_2
v_cvt_pk_fp8_f32 v22, v25, v26
v_cvt_off_f32_i4 v25, v24, src0_sel:BYTE_1
v_cvt_off_f32_i4 v26, v24, src0_sel:BYTE_3
v_cvt_pk_fp8_f32 v23, v25, v26
v_lshrrev_b32 v27, 4, v24
v_cvt_off_f32_i4 v25, v27
v_cvt_off_f32_i4 v26, v27, src0_sel:BYTE_2
v_cvt_pk_fp8_f32 v22, v25, v26, op_sel:[0, 0, 1]
v_cvt_off_f32_i4 v25, v27, src0_sel:BYTE_1
v_cvt_off_f32_i4 v26, v27, src0_sel:BYTE_3
v_cvt_pk_fp8_f32 v23, v25, v26, op_sel:[0, 0, 1]

	;;#ASMEND
	s_nop 0
	v_mov_b32_e32 v26, v197
	;;#ASMSTART
	v_cvt_off_f32_i4 v27, v26
v_cvt_off_f32_i4 v28, v26, src0_sel:BYTE_2
v_cvt_pk_fp8_f32 v24, v27, v28
v_cvt_off_f32_i4 v27, v26, src0_sel:BYTE_1
v_cvt_off_f32_i4 v28, v26, src0_sel:BYTE_3
v_cvt_pk_fp8_f32 v25, v27, v28
v_lshrrev_b32 v29, 4, v26
v_cvt_off_f32_i4 v27, v29
v_cvt_off_f32_i4 v28, v29, src0_sel:BYTE_2
v_cvt_pk_fp8_f32 v24, v27, v28, op_sel:[0, 0, 1]
v_cvt_off_f32_i4 v27, v29, src0_sel:BYTE_1
v_cvt_off_f32_i4 v28, v29, src0_sel:BYTE_3
v_cvt_pk_fp8_f32 v25, v27, v28, op_sel:[0, 0, 1]

	;;#ASMEND
	s_nop 0
	;; [unrolled: 18-line block ×31, first 2 shown]
	v_mov_b32_e32 v38, v163
	;;#ASMSTART
	v_cvt_off_f32_i4 v39, v38
v_cvt_off_f32_i4 v144, v38, src0_sel:BYTE_2
v_cvt_pk_fp8_f32 v134, v39, v144
v_cvt_off_f32_i4 v39, v38, src0_sel:BYTE_1
v_cvt_off_f32_i4 v144, v38, src0_sel:BYTE_3
v_cvt_pk_fp8_f32 v135, v39, v144
v_lshrrev_b32 v145, 4, v38
v_cvt_off_f32_i4 v39, v145
v_cvt_off_f32_i4 v144, v145, src0_sel:BYTE_2
v_cvt_pk_fp8_f32 v134, v39, v144, op_sel:[0, 0, 1]
v_cvt_off_f32_i4 v39, v145, src0_sel:BYTE_1
v_cvt_off_f32_i4 v144, v145, src0_sel:BYTE_3
v_cvt_pk_fp8_f32 v135, v39, v144, op_sel:[0, 0, 1]

	;;#ASMEND
	; sched_barrier mask(0x00000000)
	flat_load_dwordx4 a[0:3], v[20:21] offset:640
	flat_load_dwordx4 a[4:7], v[20:21] offset:656
	flat_load_dwordx4 a[8:11], v[20:21] offset:672
	flat_load_dwordx4 a[12:15], v[20:21] offset:688
	flat_load_dwordx4 a[16:19], v[20:21] offset:704
	flat_load_dwordx4 a[20:23], v[20:21] offset:720
	flat_load_dwordx4 a[24:27], v[20:21] offset:736
	flat_load_dwordx4 a[28:31], v[20:21] offset:752
	s_waitcnt vmcnt(0) lgkmcnt(0)
	v_mfma_f32_16x16x128_f8f6f4 a[0:3], v[88:95], v[22:29], a[0:3]
	s_nop 11
	flat_store_dwordx4 v[20:21], a[0:3] offset:640
	v_mfma_f32_16x16x128_f8f6f4 a[4:7], v[88:95], v[30:37], a[4:7]
	v_mfma_f32_16x16x128_f8f6f4 a[8:11], v[88:95], v[48:55], a[8:11]
	s_nop 10
	flat_store_dwordx4 v[20:21], a[4:7] offset:656
	v_mfma_f32_16x16x128_f8f6f4 a[12:15], v[88:95], v[64:71], a[12:15]
	; sched_group_barrier mask(0x00000008) size(4) SyncID(0)
	; sched_group_barrier mask(0x00000100) size(1) SyncID(0)
	flat_store_dwordx4 v[20:21], a[8:11] offset:672
	v_mfma_f32_16x16x128_f8f6f4 a[16:19], v[88:95], v[80:87], a[16:19]
	s_nop 9
	flat_store_dwordx4 v[20:21], a[12:15] offset:688
	v_mfma_f32_16x16x128_f8f6f4 a[20:23], v[88:95], v[96:103], a[20:23]
	flat_store_dwordx4 v[20:21], a[16:19] offset:704
	v_mfma_f32_16x16x128_f8f6f4 a[24:27], v[88:95], v[112:119], a[24:27]
	s_nop 9
	flat_store_dwordx4 v[20:21], a[20:23] offset:720
	v_mfma_f32_16x16x128_f8f6f4 a[28:31], v[88:95], v[128:135], a[28:31]
	; sched_group_barrier mask(0x00000008) size(4) SyncID(0)
	; sched_group_barrier mask(0x00000100) size(1) SyncID(0)
	flat_store_dwordx4 v[20:21], a[24:27] offset:736
	s_nop 10
	flat_store_dwordx4 v[20:21], a[28:31] offset:752
	flat_load_dwordx2 v[30:31], v[0:1] offset:1148
	flat_load_dwordx2 v[32:33], v[0:1] offset:1164
	flat_load_dwordx4 v[22:25], v[0:1] offset:1176
	flat_load_dwordx3 v[26:28], v[0:1] offset:1132
	flat_load_dwordx2 v[34:35], v[8:9]
	s_waitcnt vmcnt(0) lgkmcnt(0)
	v_sub_u32_e32 v29, v30, v33
	v_add_u32_e32 v25, 16, v25
	v_add_u32_e32 v22, v32, v22
	v_add3_u32 v23, v29, v23, s22
	v_sub_u32_e32 v30, v31, v32
	v_ashrrev_i32_e32 v29, 31, v25
	v_sub_u32_e32 v22, v31, v22
	v_ashrrev_i32_e32 v31, 31, v23
	v_sub_u32_e32 v28, v23, v28
	v_lshrrev_b32_e32 v29, 28, v29
	v_lshrrev_b32_e32 v31, 29, v31
	v_lshl_add_u32 v26, v28, 7, v26
	v_add_u32_e32 v28, v25, v29
	v_add_u32_e32 v29, v23, v31
	v_lshrrev_b32_e32 v31, 4, v28
	v_and_b32_e32 v29, -8, v29
	v_and_b32_e32 v28, -16, v28
	v_add_u32_e32 v22, v22, v31
	v_sub_u32_e32 v23, v23, v29
	v_sub_u32_e32 v25, v25, v28
	v_xor_b32_e32 v28, v23, v30
	v_xor_b32_e32 v22, v22, v23
	v_sub_u32_e32 v23, v28, v27
	v_sub_u32_e32 v27, v22, v27
	;; [unrolled: 1-line block ×3, first 2 shown]
	v_lshl_add_u32 v22, v23, 4, v26
	v_lshlrev_b32_e32 v26, 4, v27
	v_ashrrev_i32_e32 v23, 31, v22
	v_add3_u32 v24, v24, v25, v26
	v_lshl_add_u64 v[22:23], v[34:35], 0, v[22:23]
	v_ashrrev_i32_e32 v25, 31, v24
	flat_load_dwordx4 v[88:91], v[22:23]
	v_lshl_add_u64 v[22:23], v[34:35], 0, v[24:25]
	flat_load_dwordx4 v[92:95], v[22:23]
	v_mov_b32_e32 v24, v196
	;;#ASMSTART
	v_cvt_off_f32_i4 v25, v24
v_cvt_off_f32_i4 v26, v24, src0_sel:BYTE_2
v_cvt_pk_fp8_f32 v22, v25, v26
v_cvt_off_f32_i4 v25, v24, src0_sel:BYTE_1
v_cvt_off_f32_i4 v26, v24, src0_sel:BYTE_3
v_cvt_pk_fp8_f32 v23, v25, v26
v_lshrrev_b32 v27, 4, v24
v_cvt_off_f32_i4 v25, v27
v_cvt_off_f32_i4 v26, v27, src0_sel:BYTE_2
v_cvt_pk_fp8_f32 v22, v25, v26, op_sel:[0, 0, 1]
v_cvt_off_f32_i4 v25, v27, src0_sel:BYTE_1
v_cvt_off_f32_i4 v26, v27, src0_sel:BYTE_3
v_cvt_pk_fp8_f32 v23, v25, v26, op_sel:[0, 0, 1]

	;;#ASMEND
	s_nop 0
	v_mov_b32_e32 v26, v197
	;;#ASMSTART
	v_cvt_off_f32_i4 v27, v26
v_cvt_off_f32_i4 v28, v26, src0_sel:BYTE_2
v_cvt_pk_fp8_f32 v24, v27, v28
v_cvt_off_f32_i4 v27, v26, src0_sel:BYTE_1
v_cvt_off_f32_i4 v28, v26, src0_sel:BYTE_3
v_cvt_pk_fp8_f32 v25, v27, v28
v_lshrrev_b32 v29, 4, v26
v_cvt_off_f32_i4 v27, v29
v_cvt_off_f32_i4 v28, v29, src0_sel:BYTE_2
v_cvt_pk_fp8_f32 v24, v27, v28, op_sel:[0, 0, 1]
v_cvt_off_f32_i4 v27, v29, src0_sel:BYTE_1
v_cvt_off_f32_i4 v28, v29, src0_sel:BYTE_3
v_cvt_pk_fp8_f32 v25, v27, v28, op_sel:[0, 0, 1]

	;;#ASMEND
	s_nop 0
	v_mov_b32_e32 v28, v198
	;;#ASMSTART
	v_cvt_off_f32_i4 v29, v28
v_cvt_off_f32_i4 v30, v28, src0_sel:BYTE_2
v_cvt_pk_fp8_f32 v26, v29, v30
v_cvt_off_f32_i4 v29, v28, src0_sel:BYTE_1
v_cvt_off_f32_i4 v30, v28, src0_sel:BYTE_3
v_cvt_pk_fp8_f32 v27, v29, v30
v_lshrrev_b32 v31, 4, v28
v_cvt_off_f32_i4 v29, v31
v_cvt_off_f32_i4 v30, v31, src0_sel:BYTE_2
v_cvt_pk_fp8_f32 v26, v29, v30, op_sel:[0, 0, 1]
v_cvt_off_f32_i4 v29, v31, src0_sel:BYTE_1
v_cvt_off_f32_i4 v30, v31, src0_sel:BYTE_3
v_cvt_pk_fp8_f32 v27, v29, v30, op_sel:[0, 0, 1]

	;;#ASMEND
	s_nop 0
	v_mov_b32_e32 v30, v199
	;;#ASMSTART
	v_cvt_off_f32_i4 v31, v30
v_cvt_off_f32_i4 v32, v30, src0_sel:BYTE_2
v_cvt_pk_fp8_f32 v28, v31, v32
v_cvt_off_f32_i4 v31, v30, src0_sel:BYTE_1
v_cvt_off_f32_i4 v32, v30, src0_sel:BYTE_3
v_cvt_pk_fp8_f32 v29, v31, v32
v_lshrrev_b32 v33, 4, v30
v_cvt_off_f32_i4 v31, v33
v_cvt_off_f32_i4 v32, v33, src0_sel:BYTE_2
v_cvt_pk_fp8_f32 v28, v31, v32, op_sel:[0, 0, 1]
v_cvt_off_f32_i4 v31, v33, src0_sel:BYTE_1
v_cvt_off_f32_i4 v32, v33, src0_sel:BYTE_3
v_cvt_pk_fp8_f32 v29, v31, v32, op_sel:[0, 0, 1]

	;;#ASMEND
	s_nop 0
	v_mov_b32_e32 v32, v192
	;;#ASMSTART
	v_cvt_off_f32_i4 v33, v32
v_cvt_off_f32_i4 v34, v32, src0_sel:BYTE_2
v_cvt_pk_fp8_f32 v30, v33, v34
v_cvt_off_f32_i4 v33, v32, src0_sel:BYTE_1
v_cvt_off_f32_i4 v34, v32, src0_sel:BYTE_3
v_cvt_pk_fp8_f32 v31, v33, v34
v_lshrrev_b32 v35, 4, v32
v_cvt_off_f32_i4 v33, v35
v_cvt_off_f32_i4 v34, v35, src0_sel:BYTE_2
v_cvt_pk_fp8_f32 v30, v33, v34, op_sel:[0, 0, 1]
v_cvt_off_f32_i4 v33, v35, src0_sel:BYTE_1
v_cvt_off_f32_i4 v34, v35, src0_sel:BYTE_3
v_cvt_pk_fp8_f32 v31, v33, v34, op_sel:[0, 0, 1]

	;;#ASMEND
	s_nop 0
	v_mov_b32_e32 v34, v193
	;;#ASMSTART
	v_cvt_off_f32_i4 v35, v34
v_cvt_off_f32_i4 v36, v34, src0_sel:BYTE_2
v_cvt_pk_fp8_f32 v32, v35, v36
v_cvt_off_f32_i4 v35, v34, src0_sel:BYTE_1
v_cvt_off_f32_i4 v36, v34, src0_sel:BYTE_3
v_cvt_pk_fp8_f32 v33, v35, v36
v_lshrrev_b32 v37, 4, v34
v_cvt_off_f32_i4 v35, v37
v_cvt_off_f32_i4 v36, v37, src0_sel:BYTE_2
v_cvt_pk_fp8_f32 v32, v35, v36, op_sel:[0, 0, 1]
v_cvt_off_f32_i4 v35, v37, src0_sel:BYTE_1
v_cvt_off_f32_i4 v36, v37, src0_sel:BYTE_3
v_cvt_pk_fp8_f32 v33, v35, v36, op_sel:[0, 0, 1]

	;;#ASMEND
	s_nop 0
	v_mov_b32_e32 v36, v194
	;;#ASMSTART
	v_cvt_off_f32_i4 v37, v36
v_cvt_off_f32_i4 v38, v36, src0_sel:BYTE_2
v_cvt_pk_fp8_f32 v34, v37, v38
v_cvt_off_f32_i4 v37, v36, src0_sel:BYTE_1
v_cvt_off_f32_i4 v38, v36, src0_sel:BYTE_3
v_cvt_pk_fp8_f32 v35, v37, v38
v_lshrrev_b32 v39, 4, v36
v_cvt_off_f32_i4 v37, v39
v_cvt_off_f32_i4 v38, v39, src0_sel:BYTE_2
v_cvt_pk_fp8_f32 v34, v37, v38, op_sel:[0, 0, 1]
v_cvt_off_f32_i4 v37, v39, src0_sel:BYTE_1
v_cvt_off_f32_i4 v38, v39, src0_sel:BYTE_3
v_cvt_pk_fp8_f32 v35, v37, v38, op_sel:[0, 0, 1]

	;;#ASMEND
	s_nop 0
	v_mov_b32_e32 v38, v195
	;;#ASMSTART
	v_cvt_off_f32_i4 v39, v38
v_cvt_off_f32_i4 v48, v38, src0_sel:BYTE_2
v_cvt_pk_fp8_f32 v36, v39, v48
v_cvt_off_f32_i4 v39, v38, src0_sel:BYTE_1
v_cvt_off_f32_i4 v48, v38, src0_sel:BYTE_3
v_cvt_pk_fp8_f32 v37, v39, v48
v_lshrrev_b32 v49, 4, v38
v_cvt_off_f32_i4 v39, v49
v_cvt_off_f32_i4 v48, v49, src0_sel:BYTE_2
v_cvt_pk_fp8_f32 v36, v39, v48, op_sel:[0, 0, 1]
v_cvt_off_f32_i4 v39, v49, src0_sel:BYTE_1
v_cvt_off_f32_i4 v48, v49, src0_sel:BYTE_3
v_cvt_pk_fp8_f32 v37, v39, v48, op_sel:[0, 0, 1]

	;;#ASMEND
	s_nop 0
	v_mov_b32_e32 v38, v16
	;;#ASMSTART
	v_cvt_off_f32_i4 v39, v38
v_cvt_off_f32_i4 v50, v38, src0_sel:BYTE_2
v_cvt_pk_fp8_f32 v48, v39, v50
v_cvt_off_f32_i4 v39, v38, src0_sel:BYTE_1
v_cvt_off_f32_i4 v50, v38, src0_sel:BYTE_3
v_cvt_pk_fp8_f32 v49, v39, v50
v_lshrrev_b32 v51, 4, v38
v_cvt_off_f32_i4 v39, v51
v_cvt_off_f32_i4 v50, v51, src0_sel:BYTE_2
v_cvt_pk_fp8_f32 v48, v39, v50, op_sel:[0, 0, 1]
v_cvt_off_f32_i4 v39, v51, src0_sel:BYTE_1
v_cvt_off_f32_i4 v50, v51, src0_sel:BYTE_3
v_cvt_pk_fp8_f32 v49, v39, v50, op_sel:[0, 0, 1]

	;;#ASMEND
	s_nop 0
	v_mov_b32_e32 v38, v11
	;;#ASMSTART
	v_cvt_off_f32_i4 v39, v38
v_cvt_off_f32_i4 v52, v38, src0_sel:BYTE_2
v_cvt_pk_fp8_f32 v50, v39, v52
v_cvt_off_f32_i4 v39, v38, src0_sel:BYTE_1
v_cvt_off_f32_i4 v52, v38, src0_sel:BYTE_3
v_cvt_pk_fp8_f32 v51, v39, v52
v_lshrrev_b32 v53, 4, v38
v_cvt_off_f32_i4 v39, v53
v_cvt_off_f32_i4 v52, v53, src0_sel:BYTE_2
v_cvt_pk_fp8_f32 v50, v39, v52, op_sel:[0, 0, 1]
v_cvt_off_f32_i4 v39, v53, src0_sel:BYTE_1
v_cvt_off_f32_i4 v52, v53, src0_sel:BYTE_3
v_cvt_pk_fp8_f32 v51, v39, v52, op_sel:[0, 0, 1]

	;;#ASMEND
	s_nop 0
	v_mov_b32_e32 v38, v10
	;;#ASMSTART
	v_cvt_off_f32_i4 v39, v38
v_cvt_off_f32_i4 v54, v38, src0_sel:BYTE_2
v_cvt_pk_fp8_f32 v52, v39, v54
v_cvt_off_f32_i4 v39, v38, src0_sel:BYTE_1
v_cvt_off_f32_i4 v54, v38, src0_sel:BYTE_3
v_cvt_pk_fp8_f32 v53, v39, v54
v_lshrrev_b32 v55, 4, v38
v_cvt_off_f32_i4 v39, v55
v_cvt_off_f32_i4 v54, v55, src0_sel:BYTE_2
v_cvt_pk_fp8_f32 v52, v39, v54, op_sel:[0, 0, 1]
v_cvt_off_f32_i4 v39, v55, src0_sel:BYTE_1
v_cvt_off_f32_i4 v54, v55, src0_sel:BYTE_3
v_cvt_pk_fp8_f32 v53, v39, v54, op_sel:[0, 0, 1]

	;;#ASMEND
	s_nop 0
	v_mov_b32_e32 v38, v17
	;;#ASMSTART
	v_cvt_off_f32_i4 v39, v38
v_cvt_off_f32_i4 v64, v38, src0_sel:BYTE_2
v_cvt_pk_fp8_f32 v54, v39, v64
v_cvt_off_f32_i4 v39, v38, src0_sel:BYTE_1
v_cvt_off_f32_i4 v64, v38, src0_sel:BYTE_3
v_cvt_pk_fp8_f32 v55, v39, v64
v_lshrrev_b32 v65, 4, v38
v_cvt_off_f32_i4 v39, v65
v_cvt_off_f32_i4 v64, v65, src0_sel:BYTE_2
v_cvt_pk_fp8_f32 v54, v39, v64, op_sel:[0, 0, 1]
v_cvt_off_f32_i4 v39, v65, src0_sel:BYTE_1
v_cvt_off_f32_i4 v64, v65, src0_sel:BYTE_3
v_cvt_pk_fp8_f32 v55, v39, v64, op_sel:[0, 0, 1]

	;;#ASMEND
	s_nop 0
	v_mov_b32_e32 v38, v176
	;;#ASMSTART
	v_cvt_off_f32_i4 v39, v38
v_cvt_off_f32_i4 v66, v38, src0_sel:BYTE_2
v_cvt_pk_fp8_f32 v64, v39, v66
v_cvt_off_f32_i4 v39, v38, src0_sel:BYTE_1
v_cvt_off_f32_i4 v66, v38, src0_sel:BYTE_3
v_cvt_pk_fp8_f32 v65, v39, v66
v_lshrrev_b32 v67, 4, v38
v_cvt_off_f32_i4 v39, v67
v_cvt_off_f32_i4 v66, v67, src0_sel:BYTE_2
v_cvt_pk_fp8_f32 v64, v39, v66, op_sel:[0, 0, 1]
v_cvt_off_f32_i4 v39, v67, src0_sel:BYTE_1
v_cvt_off_f32_i4 v66, v67, src0_sel:BYTE_3
v_cvt_pk_fp8_f32 v65, v39, v66, op_sel:[0, 0, 1]

	;;#ASMEND
	s_nop 0
	v_mov_b32_e32 v38, v19
	;;#ASMSTART
	v_cvt_off_f32_i4 v39, v38
v_cvt_off_f32_i4 v68, v38, src0_sel:BYTE_2
v_cvt_pk_fp8_f32 v66, v39, v68
v_cvt_off_f32_i4 v39, v38, src0_sel:BYTE_1
v_cvt_off_f32_i4 v68, v38, src0_sel:BYTE_3
v_cvt_pk_fp8_f32 v67, v39, v68
v_lshrrev_b32 v69, 4, v38
v_cvt_off_f32_i4 v39, v69
v_cvt_off_f32_i4 v68, v69, src0_sel:BYTE_2
v_cvt_pk_fp8_f32 v66, v39, v68, op_sel:[0, 0, 1]
v_cvt_off_f32_i4 v39, v69, src0_sel:BYTE_1
v_cvt_off_f32_i4 v68, v69, src0_sel:BYTE_3
v_cvt_pk_fp8_f32 v67, v39, v68, op_sel:[0, 0, 1]

	;;#ASMEND
	s_nop 0
	v_mov_b32_e32 v38, v18
	;;#ASMSTART
	v_cvt_off_f32_i4 v39, v38
v_cvt_off_f32_i4 v70, v38, src0_sel:BYTE_2
v_cvt_pk_fp8_f32 v68, v39, v70
v_cvt_off_f32_i4 v39, v38, src0_sel:BYTE_1
v_cvt_off_f32_i4 v70, v38, src0_sel:BYTE_3
v_cvt_pk_fp8_f32 v69, v39, v70
v_lshrrev_b32 v71, 4, v38
v_cvt_off_f32_i4 v39, v71
v_cvt_off_f32_i4 v70, v71, src0_sel:BYTE_2
v_cvt_pk_fp8_f32 v68, v39, v70, op_sel:[0, 0, 1]
v_cvt_off_f32_i4 v39, v71, src0_sel:BYTE_1
v_cvt_off_f32_i4 v70, v71, src0_sel:BYTE_3
v_cvt_pk_fp8_f32 v69, v39, v70, op_sel:[0, 0, 1]

	;;#ASMEND
	s_nop 0
	v_mov_b32_e32 v38, v177
	;;#ASMSTART
	v_cvt_off_f32_i4 v39, v38
v_cvt_off_f32_i4 v80, v38, src0_sel:BYTE_2
v_cvt_pk_fp8_f32 v70, v39, v80
v_cvt_off_f32_i4 v39, v38, src0_sel:BYTE_1
v_cvt_off_f32_i4 v80, v38, src0_sel:BYTE_3
v_cvt_pk_fp8_f32 v71, v39, v80
v_lshrrev_b32 v81, 4, v38
v_cvt_off_f32_i4 v39, v81
v_cvt_off_f32_i4 v80, v81, src0_sel:BYTE_2
v_cvt_pk_fp8_f32 v70, v39, v80, op_sel:[0, 0, 1]
v_cvt_off_f32_i4 v39, v81, src0_sel:BYTE_1
v_cvt_off_f32_i4 v80, v81, src0_sel:BYTE_3
v_cvt_pk_fp8_f32 v71, v39, v80, op_sel:[0, 0, 1]

	;;#ASMEND
	s_nop 0
	v_mov_b32_e32 v38, v164
	;;#ASMSTART
	v_cvt_off_f32_i4 v39, v38
v_cvt_off_f32_i4 v82, v38, src0_sel:BYTE_2
v_cvt_pk_fp8_f32 v80, v39, v82
v_cvt_off_f32_i4 v39, v38, src0_sel:BYTE_1
v_cvt_off_f32_i4 v82, v38, src0_sel:BYTE_3
v_cvt_pk_fp8_f32 v81, v39, v82
v_lshrrev_b32 v83, 4, v38
v_cvt_off_f32_i4 v39, v83
v_cvt_off_f32_i4 v82, v83, src0_sel:BYTE_2
v_cvt_pk_fp8_f32 v80, v39, v82, op_sel:[0, 0, 1]
v_cvt_off_f32_i4 v39, v83, src0_sel:BYTE_1
v_cvt_off_f32_i4 v82, v83, src0_sel:BYTE_3
v_cvt_pk_fp8_f32 v81, v39, v82, op_sel:[0, 0, 1]

	;;#ASMEND
	s_nop 0
	v_mov_b32_e32 v38, v165
	;;#ASMSTART
	v_cvt_off_f32_i4 v39, v38
v_cvt_off_f32_i4 v84, v38, src0_sel:BYTE_2
v_cvt_pk_fp8_f32 v82, v39, v84
v_cvt_off_f32_i4 v39, v38, src0_sel:BYTE_1
v_cvt_off_f32_i4 v84, v38, src0_sel:BYTE_3
v_cvt_pk_fp8_f32 v83, v39, v84
v_lshrrev_b32 v85, 4, v38
v_cvt_off_f32_i4 v39, v85
v_cvt_off_f32_i4 v84, v85, src0_sel:BYTE_2
v_cvt_pk_fp8_f32 v82, v39, v84, op_sel:[0, 0, 1]
v_cvt_off_f32_i4 v39, v85, src0_sel:BYTE_1
v_cvt_off_f32_i4 v84, v85, src0_sel:BYTE_3
v_cvt_pk_fp8_f32 v83, v39, v84, op_sel:[0, 0, 1]

	;;#ASMEND
	s_nop 0
	v_mov_b32_e32 v38, v166
	;;#ASMSTART
	v_cvt_off_f32_i4 v39, v38
v_cvt_off_f32_i4 v86, v38, src0_sel:BYTE_2
v_cvt_pk_fp8_f32 v84, v39, v86
v_cvt_off_f32_i4 v39, v38, src0_sel:BYTE_1
v_cvt_off_f32_i4 v86, v38, src0_sel:BYTE_3
v_cvt_pk_fp8_f32 v85, v39, v86
v_lshrrev_b32 v87, 4, v38
v_cvt_off_f32_i4 v39, v87
v_cvt_off_f32_i4 v86, v87, src0_sel:BYTE_2
v_cvt_pk_fp8_f32 v84, v39, v86, op_sel:[0, 0, 1]
v_cvt_off_f32_i4 v39, v87, src0_sel:BYTE_1
v_cvt_off_f32_i4 v86, v87, src0_sel:BYTE_3
v_cvt_pk_fp8_f32 v85, v39, v86, op_sel:[0, 0, 1]

	;;#ASMEND
	s_nop 0
	v_mov_b32_e32 v38, v167
	;;#ASMSTART
	v_cvt_off_f32_i4 v39, v38
v_cvt_off_f32_i4 v96, v38, src0_sel:BYTE_2
v_cvt_pk_fp8_f32 v86, v39, v96
v_cvt_off_f32_i4 v39, v38, src0_sel:BYTE_1
v_cvt_off_f32_i4 v96, v38, src0_sel:BYTE_3
v_cvt_pk_fp8_f32 v87, v39, v96
v_lshrrev_b32 v97, 4, v38
v_cvt_off_f32_i4 v39, v97
v_cvt_off_f32_i4 v96, v97, src0_sel:BYTE_2
v_cvt_pk_fp8_f32 v86, v39, v96, op_sel:[0, 0, 1]
v_cvt_off_f32_i4 v39, v97, src0_sel:BYTE_1
v_cvt_off_f32_i4 v96, v97, src0_sel:BYTE_3
v_cvt_pk_fp8_f32 v87, v39, v96, op_sel:[0, 0, 1]

	;;#ASMEND
	s_nop 0
	v_mov_b32_e32 v38, v181
	;;#ASMSTART
	v_cvt_off_f32_i4 v39, v38
v_cvt_off_f32_i4 v98, v38, src0_sel:BYTE_2
v_cvt_pk_fp8_f32 v96, v39, v98
v_cvt_off_f32_i4 v39, v38, src0_sel:BYTE_1
v_cvt_off_f32_i4 v98, v38, src0_sel:BYTE_3
v_cvt_pk_fp8_f32 v97, v39, v98
v_lshrrev_b32 v99, 4, v38
v_cvt_off_f32_i4 v39, v99
v_cvt_off_f32_i4 v98, v99, src0_sel:BYTE_2
v_cvt_pk_fp8_f32 v96, v39, v98, op_sel:[0, 0, 1]
v_cvt_off_f32_i4 v39, v99, src0_sel:BYTE_1
v_cvt_off_f32_i4 v98, v99, src0_sel:BYTE_3
v_cvt_pk_fp8_f32 v97, v39, v98, op_sel:[0, 0, 1]

	;;#ASMEND
	s_nop 0
	v_mov_b32_e32 v38, v179
	;;#ASMSTART
	v_cvt_off_f32_i4 v39, v38
v_cvt_off_f32_i4 v100, v38, src0_sel:BYTE_2
v_cvt_pk_fp8_f32 v98, v39, v100
v_cvt_off_f32_i4 v39, v38, src0_sel:BYTE_1
v_cvt_off_f32_i4 v100, v38, src0_sel:BYTE_3
v_cvt_pk_fp8_f32 v99, v39, v100
v_lshrrev_b32 v101, 4, v38
v_cvt_off_f32_i4 v39, v101
v_cvt_off_f32_i4 v100, v101, src0_sel:BYTE_2
v_cvt_pk_fp8_f32 v98, v39, v100, op_sel:[0, 0, 1]
v_cvt_off_f32_i4 v39, v101, src0_sel:BYTE_1
v_cvt_off_f32_i4 v100, v101, src0_sel:BYTE_3
v_cvt_pk_fp8_f32 v99, v39, v100, op_sel:[0, 0, 1]

	;;#ASMEND
	s_nop 0
	v_mov_b32_e32 v38, v178
	;;#ASMSTART
	v_cvt_off_f32_i4 v39, v38
v_cvt_off_f32_i4 v102, v38, src0_sel:BYTE_2
v_cvt_pk_fp8_f32 v100, v39, v102
v_cvt_off_f32_i4 v39, v38, src0_sel:BYTE_1
v_cvt_off_f32_i4 v102, v38, src0_sel:BYTE_3
v_cvt_pk_fp8_f32 v101, v39, v102
v_lshrrev_b32 v103, 4, v38
v_cvt_off_f32_i4 v39, v103
v_cvt_off_f32_i4 v102, v103, src0_sel:BYTE_2
v_cvt_pk_fp8_f32 v100, v39, v102, op_sel:[0, 0, 1]
v_cvt_off_f32_i4 v39, v103, src0_sel:BYTE_1
v_cvt_off_f32_i4 v102, v103, src0_sel:BYTE_3
v_cvt_pk_fp8_f32 v101, v39, v102, op_sel:[0, 0, 1]

	;;#ASMEND
	s_nop 0
	v_mov_b32_e32 v38, v180
	;;#ASMSTART
	v_cvt_off_f32_i4 v39, v38
v_cvt_off_f32_i4 v112, v38, src0_sel:BYTE_2
v_cvt_pk_fp8_f32 v102, v39, v112
v_cvt_off_f32_i4 v39, v38, src0_sel:BYTE_1
v_cvt_off_f32_i4 v112, v38, src0_sel:BYTE_3
v_cvt_pk_fp8_f32 v103, v39, v112
v_lshrrev_b32 v113, 4, v38
v_cvt_off_f32_i4 v39, v113
v_cvt_off_f32_i4 v112, v113, src0_sel:BYTE_2
v_cvt_pk_fp8_f32 v102, v39, v112, op_sel:[0, 0, 1]
v_cvt_off_f32_i4 v39, v113, src0_sel:BYTE_1
v_cvt_off_f32_i4 v112, v113, src0_sel:BYTE_3
v_cvt_pk_fp8_f32 v103, v39, v112, op_sel:[0, 0, 1]

	;;#ASMEND
	s_nop 0
	v_mov_b32_e32 v38, v57
	;;#ASMSTART
	v_cvt_off_f32_i4 v39, v38
v_cvt_off_f32_i4 v114, v38, src0_sel:BYTE_2
v_cvt_pk_fp8_f32 v112, v39, v114
v_cvt_off_f32_i4 v39, v38, src0_sel:BYTE_1
v_cvt_off_f32_i4 v114, v38, src0_sel:BYTE_3
v_cvt_pk_fp8_f32 v113, v39, v114
v_lshrrev_b32 v115, 4, v38
v_cvt_off_f32_i4 v39, v115
v_cvt_off_f32_i4 v114, v115, src0_sel:BYTE_2
v_cvt_pk_fp8_f32 v112, v39, v114, op_sel:[0, 0, 1]
v_cvt_off_f32_i4 v39, v115, src0_sel:BYTE_1
v_cvt_off_f32_i4 v114, v115, src0_sel:BYTE_3
v_cvt_pk_fp8_f32 v113, v39, v114, op_sel:[0, 0, 1]

	;;#ASMEND
	s_nop 0
	v_mov_b32_e32 v38, v183
	;;#ASMSTART
	v_cvt_off_f32_i4 v39, v38
v_cvt_off_f32_i4 v116, v38, src0_sel:BYTE_2
v_cvt_pk_fp8_f32 v114, v39, v116
v_cvt_off_f32_i4 v39, v38, src0_sel:BYTE_1
v_cvt_off_f32_i4 v116, v38, src0_sel:BYTE_3
v_cvt_pk_fp8_f32 v115, v39, v116
v_lshrrev_b32 v117, 4, v38
v_cvt_off_f32_i4 v39, v117
v_cvt_off_f32_i4 v116, v117, src0_sel:BYTE_2
v_cvt_pk_fp8_f32 v114, v39, v116, op_sel:[0, 0, 1]
v_cvt_off_f32_i4 v39, v117, src0_sel:BYTE_1
v_cvt_off_f32_i4 v116, v117, src0_sel:BYTE_3
v_cvt_pk_fp8_f32 v115, v39, v116, op_sel:[0, 0, 1]

	;;#ASMEND
	s_nop 0
	v_mov_b32_e32 v38, v182
	;;#ASMSTART
	v_cvt_off_f32_i4 v39, v38
v_cvt_off_f32_i4 v118, v38, src0_sel:BYTE_2
v_cvt_pk_fp8_f32 v116, v39, v118
v_cvt_off_f32_i4 v39, v38, src0_sel:BYTE_1
v_cvt_off_f32_i4 v118, v38, src0_sel:BYTE_3
v_cvt_pk_fp8_f32 v117, v39, v118
v_lshrrev_b32 v119, 4, v38
v_cvt_off_f32_i4 v39, v119
v_cvt_off_f32_i4 v118, v119, src0_sel:BYTE_2
v_cvt_pk_fp8_f32 v116, v39, v118, op_sel:[0, 0, 1]
v_cvt_off_f32_i4 v39, v119, src0_sel:BYTE_1
v_cvt_off_f32_i4 v118, v119, src0_sel:BYTE_3
v_cvt_pk_fp8_f32 v117, v39, v118, op_sel:[0, 0, 1]

	;;#ASMEND
	s_nop 0
	v_mov_b32_e32 v38, v56
	;;#ASMSTART
	v_cvt_off_f32_i4 v39, v38
v_cvt_off_f32_i4 v128, v38, src0_sel:BYTE_2
v_cvt_pk_fp8_f32 v118, v39, v128
v_cvt_off_f32_i4 v39, v38, src0_sel:BYTE_1
v_cvt_off_f32_i4 v128, v38, src0_sel:BYTE_3
v_cvt_pk_fp8_f32 v119, v39, v128
v_lshrrev_b32 v129, 4, v38
v_cvt_off_f32_i4 v39, v129
v_cvt_off_f32_i4 v128, v129, src0_sel:BYTE_2
v_cvt_pk_fp8_f32 v118, v39, v128, op_sel:[0, 0, 1]
v_cvt_off_f32_i4 v39, v129, src0_sel:BYTE_1
v_cvt_off_f32_i4 v128, v129, src0_sel:BYTE_3
v_cvt_pk_fp8_f32 v119, v39, v128, op_sel:[0, 0, 1]

	;;#ASMEND
	s_nop 0
	v_mov_b32_e32 v38, v60
	;;#ASMSTART
	v_cvt_off_f32_i4 v39, v38
v_cvt_off_f32_i4 v130, v38, src0_sel:BYTE_2
v_cvt_pk_fp8_f32 v128, v39, v130
v_cvt_off_f32_i4 v39, v38, src0_sel:BYTE_1
v_cvt_off_f32_i4 v130, v38, src0_sel:BYTE_3
v_cvt_pk_fp8_f32 v129, v39, v130
v_lshrrev_b32 v131, 4, v38
v_cvt_off_f32_i4 v39, v131
v_cvt_off_f32_i4 v130, v131, src0_sel:BYTE_2
v_cvt_pk_fp8_f32 v128, v39, v130, op_sel:[0, 0, 1]
v_cvt_off_f32_i4 v39, v131, src0_sel:BYTE_1
v_cvt_off_f32_i4 v130, v131, src0_sel:BYTE_3
v_cvt_pk_fp8_f32 v129, v39, v130, op_sel:[0, 0, 1]

	;;#ASMEND
	s_nop 0
	v_mov_b32_e32 v38, v59
	;;#ASMSTART
	v_cvt_off_f32_i4 v39, v38
v_cvt_off_f32_i4 v132, v38, src0_sel:BYTE_2
v_cvt_pk_fp8_f32 v130, v39, v132
v_cvt_off_f32_i4 v39, v38, src0_sel:BYTE_1
v_cvt_off_f32_i4 v132, v38, src0_sel:BYTE_3
v_cvt_pk_fp8_f32 v131, v39, v132
v_lshrrev_b32 v133, 4, v38
v_cvt_off_f32_i4 v39, v133
v_cvt_off_f32_i4 v132, v133, src0_sel:BYTE_2
v_cvt_pk_fp8_f32 v130, v39, v132, op_sel:[0, 0, 1]
v_cvt_off_f32_i4 v39, v133, src0_sel:BYTE_1
v_cvt_off_f32_i4 v132, v133, src0_sel:BYTE_3
v_cvt_pk_fp8_f32 v131, v39, v132, op_sel:[0, 0, 1]

	;;#ASMEND
	s_nop 0
	v_mov_b32_e32 v38, v58
	;;#ASMSTART
	v_cvt_off_f32_i4 v39, v38
v_cvt_off_f32_i4 v134, v38, src0_sel:BYTE_2
v_cvt_pk_fp8_f32 v132, v39, v134
v_cvt_off_f32_i4 v39, v38, src0_sel:BYTE_1
v_cvt_off_f32_i4 v134, v38, src0_sel:BYTE_3
v_cvt_pk_fp8_f32 v133, v39, v134
v_lshrrev_b32 v135, 4, v38
v_cvt_off_f32_i4 v39, v135
v_cvt_off_f32_i4 v134, v135, src0_sel:BYTE_2
v_cvt_pk_fp8_f32 v132, v39, v134, op_sel:[0, 0, 1]
v_cvt_off_f32_i4 v39, v135, src0_sel:BYTE_1
v_cvt_off_f32_i4 v134, v135, src0_sel:BYTE_3
v_cvt_pk_fp8_f32 v133, v39, v134, op_sel:[0, 0, 1]

	;;#ASMEND
	s_nop 0
	v_mov_b32_e32 v38, v163
	;;#ASMSTART
	v_cvt_off_f32_i4 v39, v38
v_cvt_off_f32_i4 v144, v38, src0_sel:BYTE_2
v_cvt_pk_fp8_f32 v134, v39, v144
v_cvt_off_f32_i4 v39, v38, src0_sel:BYTE_1
v_cvt_off_f32_i4 v144, v38, src0_sel:BYTE_3
v_cvt_pk_fp8_f32 v135, v39, v144
v_lshrrev_b32 v145, 4, v38
v_cvt_off_f32_i4 v39, v145
v_cvt_off_f32_i4 v144, v145, src0_sel:BYTE_2
v_cvt_pk_fp8_f32 v134, v39, v144, op_sel:[0, 0, 1]
v_cvt_off_f32_i4 v39, v145, src0_sel:BYTE_1
v_cvt_off_f32_i4 v144, v145, src0_sel:BYTE_3
v_cvt_pk_fp8_f32 v135, v39, v144, op_sel:[0, 0, 1]

	;;#ASMEND
	; sched_barrier mask(0x00000000)
	flat_load_dwordx4 a[0:3], v[20:21] offset:768
	flat_load_dwordx4 a[4:7], v[20:21] offset:784
	;; [unrolled: 1-line block ×8, first 2 shown]
	s_waitcnt vmcnt(0) lgkmcnt(0)
	v_mfma_f32_16x16x128_f8f6f4 a[0:3], v[88:95], v[22:29], a[0:3]
	s_nop 11
	flat_store_dwordx4 v[20:21], a[0:3] offset:768
	v_mfma_f32_16x16x128_f8f6f4 a[4:7], v[88:95], v[30:37], a[4:7]
	v_mfma_f32_16x16x128_f8f6f4 a[8:11], v[88:95], v[48:55], a[8:11]
	s_nop 10
	flat_store_dwordx4 v[20:21], a[4:7] offset:784
	v_mfma_f32_16x16x128_f8f6f4 a[12:15], v[88:95], v[64:71], a[12:15]
	; sched_group_barrier mask(0x00000008) size(4) SyncID(0)
	; sched_group_barrier mask(0x00000100) size(1) SyncID(0)
	flat_store_dwordx4 v[20:21], a[8:11] offset:800
	v_mfma_f32_16x16x128_f8f6f4 a[16:19], v[88:95], v[80:87], a[16:19]
	s_nop 9
	flat_store_dwordx4 v[20:21], a[12:15] offset:816
	v_mfma_f32_16x16x128_f8f6f4 a[20:23], v[88:95], v[96:103], a[20:23]
	flat_store_dwordx4 v[20:21], a[16:19] offset:832
	v_mfma_f32_16x16x128_f8f6f4 a[24:27], v[88:95], v[112:119], a[24:27]
	s_nop 9
	flat_store_dwordx4 v[20:21], a[20:23] offset:848
	v_mfma_f32_16x16x128_f8f6f4 a[28:31], v[88:95], v[128:135], a[28:31]
	; sched_group_barrier mask(0x00000008) size(4) SyncID(0)
	; sched_group_barrier mask(0x00000100) size(1) SyncID(0)
	flat_store_dwordx4 v[20:21], a[24:27] offset:864
	s_nop 10
	flat_store_dwordx4 v[20:21], a[28:31] offset:880
	flat_load_dwordx2 v[30:31], v[0:1] offset:1148
	flat_load_dwordx2 v[32:33], v[0:1] offset:1164
	flat_load_dwordx4 v[22:25], v[0:1] offset:1176
	flat_load_dwordx3 v[26:28], v[0:1] offset:1132
	flat_load_dwordx2 v[34:35], v[8:9]
	s_waitcnt vmcnt(0) lgkmcnt(0)
	v_sub_u32_e32 v29, v30, v33
	v_add_u32_e32 v25, 16, v25
	v_add_u32_e32 v22, v32, v22
	v_add3_u32 v23, v29, v23, s23
	v_sub_u32_e32 v30, v31, v32
	v_ashrrev_i32_e32 v29, 31, v25
	v_sub_u32_e32 v22, v31, v22
	v_ashrrev_i32_e32 v31, 31, v23
	v_sub_u32_e32 v28, v23, v28
	v_lshrrev_b32_e32 v29, 28, v29
	v_lshrrev_b32_e32 v31, 29, v31
	v_lshl_add_u32 v26, v28, 7, v26
	v_add_u32_e32 v28, v25, v29
	v_add_u32_e32 v29, v23, v31
	v_lshrrev_b32_e32 v31, 4, v28
	v_and_b32_e32 v29, -8, v29
	v_and_b32_e32 v28, -16, v28
	v_add_u32_e32 v22, v22, v31
	v_sub_u32_e32 v23, v23, v29
	v_sub_u32_e32 v25, v25, v28
	v_xor_b32_e32 v28, v23, v30
	v_xor_b32_e32 v22, v22, v23
	v_sub_u32_e32 v23, v28, v27
	v_sub_u32_e32 v27, v22, v27
	;; [unrolled: 1-line block ×3, first 2 shown]
	v_lshl_add_u32 v22, v23, 4, v26
	v_lshlrev_b32_e32 v26, 4, v27
	v_ashrrev_i32_e32 v23, 31, v22
	v_add3_u32 v24, v24, v25, v26
	v_lshl_add_u64 v[22:23], v[34:35], 0, v[22:23]
	v_ashrrev_i32_e32 v25, 31, v24
	flat_load_dwordx4 v[144:147], v[22:23]
	v_lshl_add_u64 v[22:23], v[34:35], 0, v[24:25]
	flat_load_dwordx4 v[148:151], v[22:23]
	;;#ASMSTART
	v_cvt_off_f32_i4 v24, v196
v_cvt_off_f32_i4 v25, v196, src0_sel:BYTE_2
v_cvt_pk_fp8_f32 v22, v24, v25
v_cvt_off_f32_i4 v24, v196, src0_sel:BYTE_1
v_cvt_off_f32_i4 v25, v196, src0_sel:BYTE_3
v_cvt_pk_fp8_f32 v23, v24, v25
v_lshrrev_b32 v26, 4, v196
v_cvt_off_f32_i4 v24, v26
v_cvt_off_f32_i4 v25, v26, src0_sel:BYTE_2
v_cvt_pk_fp8_f32 v22, v24, v25, op_sel:[0, 0, 1]
v_cvt_off_f32_i4 v24, v26, src0_sel:BYTE_1
v_cvt_off_f32_i4 v25, v26, src0_sel:BYTE_3
v_cvt_pk_fp8_f32 v23, v24, v25, op_sel:[0, 0, 1]

	;;#ASMEND
	s_nop 0
	;;#ASMSTART
	v_cvt_off_f32_i4 v26, v197
v_cvt_off_f32_i4 v27, v197, src0_sel:BYTE_2
v_cvt_pk_fp8_f32 v24, v26, v27
v_cvt_off_f32_i4 v26, v197, src0_sel:BYTE_1
v_cvt_off_f32_i4 v27, v197, src0_sel:BYTE_3
v_cvt_pk_fp8_f32 v25, v26, v27
v_lshrrev_b32 v28, 4, v197
v_cvt_off_f32_i4 v26, v28
v_cvt_off_f32_i4 v27, v28, src0_sel:BYTE_2
v_cvt_pk_fp8_f32 v24, v26, v27, op_sel:[0, 0, 1]
v_cvt_off_f32_i4 v26, v28, src0_sel:BYTE_1
v_cvt_off_f32_i4 v27, v28, src0_sel:BYTE_3
v_cvt_pk_fp8_f32 v25, v26, v27, op_sel:[0, 0, 1]

	;;#ASMEND
	s_nop 0
	;; [unrolled: 17-line block ×31, first 2 shown]
	;;#ASMSTART
	v_cvt_off_f32_i4 v10, v163
v_cvt_off_f32_i4 v11, v163, src0_sel:BYTE_2
v_cvt_pk_fp8_f32 v134, v10, v11
v_cvt_off_f32_i4 v10, v163, src0_sel:BYTE_1
v_cvt_off_f32_i4 v11, v163, src0_sel:BYTE_3
v_cvt_pk_fp8_f32 v135, v10, v11
v_lshrrev_b32 v16, 4, v163
v_cvt_off_f32_i4 v10, v16
v_cvt_off_f32_i4 v11, v16, src0_sel:BYTE_2
v_cvt_pk_fp8_f32 v134, v10, v11, op_sel:[0, 0, 1]
v_cvt_off_f32_i4 v10, v16, src0_sel:BYTE_1
v_cvt_off_f32_i4 v11, v16, src0_sel:BYTE_3
v_cvt_pk_fp8_f32 v135, v10, v11, op_sel:[0, 0, 1]

	;;#ASMEND
	; sched_barrier mask(0x00000000)
	flat_load_dwordx4 a[0:3], v[20:21] offset:896
	flat_load_dwordx4 a[4:7], v[20:21] offset:912
	;; [unrolled: 1-line block ×8, first 2 shown]
	v_perm_b32 v211, v211, v211, s16
	v_perm_b32 v215, v215, v215, s16
	;; [unrolled: 1-line block ×8, first 2 shown]
	s_waitcnt vmcnt(0) lgkmcnt(0)
	v_mfma_f32_16x16x128_f8f6f4 a[0:3], v[144:151], v[22:29], a[0:3]
	s_nop 11
	flat_store_dwordx4 v[20:21], a[0:3] offset:896
	v_mfma_f32_16x16x128_f8f6f4 a[4:7], v[144:151], v[30:37], a[4:7]
	v_mfma_f32_16x16x128_f8f6f4 a[8:11], v[144:151], v[48:55], a[8:11]
	s_nop 10
	flat_store_dwordx4 v[20:21], a[4:7] offset:912
	v_mfma_f32_16x16x128_f8f6f4 a[12:15], v[144:151], v[64:71], a[12:15]
	; sched_group_barrier mask(0x00000008) size(4) SyncID(0)
	; sched_group_barrier mask(0x00000100) size(1) SyncID(0)
	flat_store_dwordx4 v[20:21], a[8:11] offset:928
	v_mfma_f32_16x16x128_f8f6f4 a[16:19], v[144:151], v[80:87], a[16:19]
	s_nop 9
	flat_store_dwordx4 v[20:21], a[12:15] offset:944
	v_mfma_f32_16x16x128_f8f6f4 a[20:23], v[144:151], v[96:103], a[20:23]
	flat_store_dwordx4 v[20:21], a[16:19] offset:960
	v_mfma_f32_16x16x128_f8f6f4 a[24:27], v[144:151], v[112:119], a[24:27]
	s_nop 9
	flat_store_dwordx4 v[20:21], a[20:23] offset:976
	v_mfma_f32_16x16x128_f8f6f4 a[28:31], v[144:151], v[128:135], a[28:31]
	; sched_group_barrier mask(0x00000008) size(4) SyncID(0)
	; sched_group_barrier mask(0x00000100) size(1) SyncID(0)
	flat_store_dwordx4 v[20:21], a[24:27] offset:992
	s_nop 10
	flat_store_dwordx4 v[20:21], a[28:31] offset:1008
	s_waitcnt lgkmcnt(0)
	s_barrier
	flat_load_dwordx3 v[16:18], v[0:1] offset:1132
	flat_load_dwordx2 v[22:23], v[0:1] offset:1184
	flat_load_dwordx2 v[10:11], v[0:1] offset:1148
	flat_load_dword v19, v[0:1] offset:1176
	flat_load_dwordx2 v[24:25], v[8:9] offset:16
	s_waitcnt vmcnt(0) lgkmcnt(0)
	v_ashrrev_i32_e32 v27, 31, v16
	v_mov_b32_e32 v26, v16
	v_add_u32_e32 v23, 16, v23
	v_sub_u32_e32 v11, v11, v19
	v_ashrrev_i32_e32 v28, 31, v10
	v_sub_u32_e32 v29, v10, v18
	v_lshl_add_u64 v[18:19], v[24:25], 0, v[26:27]
	v_ashrrev_i32_e32 v26, 31, v23
	v_lshrrev_b32_e32 v27, 29, v28
	flat_load_dwordx4 a[0:3], v[18:19]
	v_lshrrev_b32_e32 v18, 28, v26
	v_add_u32_e32 v19, v10, v27
	v_add_u32_e32 v18, v23, v18
	v_and_b32_e32 v19, 0xffffff8, v19
	v_lshrrev_b32_e32 v26, 4, v18
	v_sub_u32_e32 v10, v10, v19
	v_add_u32_e32 v11, v11, v26
	v_xor_b32_e32 v10, v11, v10
	v_lshl_add_u32 v16, v29, 7, v16
	v_and_b32_e32 v18, -16, v18
	v_sub_u32_e32 v10, v10, v17
	v_sub_u32_e32 v18, v23, v18
	v_lshlrev_b32_e32 v10, 4, v10
	v_sub_u32_e32 v11, v16, v22
	v_add3_u32 v10, v11, v18, v10
	v_ashrrev_i32_e32 v11, 31, v10
	v_lshl_add_u64 v[10:11], v[24:25], 0, v[10:11]
	flat_load_dwordx4 a[4:7], v[10:11]
	v_mov_b32_e32 v10, v208
	;;#ASMSTART
	v_cvt_off_f32_i4 v11, v10
v_cvt_off_f32_i4 v16, v10, src0_sel:BYTE_2
v_cvt_pk_fp8_f32 v30, v11, v16
v_cvt_off_f32_i4 v11, v10, src0_sel:BYTE_1
v_cvt_off_f32_i4 v16, v10, src0_sel:BYTE_3
v_cvt_pk_fp8_f32 v31, v11, v16
v_lshrrev_b32 v17, 4, v10
v_cvt_off_f32_i4 v11, v17
v_cvt_off_f32_i4 v16, v17, src0_sel:BYTE_2
v_cvt_pk_fp8_f32 v30, v11, v16, op_sel:[0, 0, 1]
v_cvt_off_f32_i4 v11, v17, src0_sel:BYTE_1
v_cvt_off_f32_i4 v16, v17, src0_sel:BYTE_3
v_cvt_pk_fp8_f32 v31, v11, v16, op_sel:[0, 0, 1]

	;;#ASMEND
	s_nop 0
	v_mov_b32_e32 v10, v209
	;;#ASMSTART
	v_cvt_off_f32_i4 v11, v10
v_cvt_off_f32_i4 v16, v10, src0_sel:BYTE_2
v_cvt_pk_fp8_f32 v32, v11, v16
v_cvt_off_f32_i4 v11, v10, src0_sel:BYTE_1
v_cvt_off_f32_i4 v16, v10, src0_sel:BYTE_3
v_cvt_pk_fp8_f32 v33, v11, v16
v_lshrrev_b32 v17, 4, v10
v_cvt_off_f32_i4 v11, v17
v_cvt_off_f32_i4 v16, v17, src0_sel:BYTE_2
v_cvt_pk_fp8_f32 v32, v11, v16, op_sel:[0, 0, 1]
v_cvt_off_f32_i4 v11, v17, src0_sel:BYTE_1
v_cvt_off_f32_i4 v16, v17, src0_sel:BYTE_3
v_cvt_pk_fp8_f32 v33, v11, v16, op_sel:[0, 0, 1]

	;;#ASMEND
	s_nop 0
	;; [unrolled: 18-line block ×31, first 2 shown]
	v_mov_b32_e32 v10, v47
	;;#ASMSTART
	v_cvt_off_f32_i4 v11, v10
v_cvt_off_f32_i4 v16, v10, src0_sel:BYTE_2
v_cvt_pk_fp8_f32 v134, v11, v16
v_cvt_off_f32_i4 v11, v10, src0_sel:BYTE_1
v_cvt_off_f32_i4 v16, v10, src0_sel:BYTE_3
v_cvt_pk_fp8_f32 v135, v11, v16
v_lshrrev_b32 v17, 4, v10
v_cvt_off_f32_i4 v11, v17
v_cvt_off_f32_i4 v16, v17, src0_sel:BYTE_2
v_cvt_pk_fp8_f32 v134, v11, v16, op_sel:[0, 0, 1]
v_cvt_off_f32_i4 v11, v17, src0_sel:BYTE_1
v_cvt_off_f32_i4 v16, v17, src0_sel:BYTE_3
v_cvt_pk_fp8_f32 v135, v11, v16, op_sel:[0, 0, 1]

	;;#ASMEND
	; sched_barrier mask(0x00000000)
	s_nop 0
	v_accvgpr_read_b32 v10, a40
	v_accvgpr_read_b32 v11, a41
	flat_load_dwordx3 v[60:62], v[14:15]
	flat_load_dwordx4 v[16:19], v[10:11]
	s_mov_b64 s[2:3], exec
	s_waitcnt vmcnt(0) lgkmcnt(0)
	v_lshrrev_b32_e32 v10, 31, v60
	v_lshrrev_b32_e32 v74, 31, v19
	v_and_b32_e32 v39, 0xffff, v17
	v_mov_b32_e32 v38, v16
	v_add_u32_e32 v10, v60, v10
	v_lshl_add_u64 v[16:17], v[18:19], 0, v[74:75]
	v_ashrrev_i32_e32 v10, 1, v10
	v_alignbit_b32 v76, v17, v16, 1
.LBB3_105:                              ;   Parent Loop BB3_64 Depth=1
                                        ; =>  This Inner Loop Header: Depth=2
	v_readfirstlane_b32 s4, v38
	v_readfirstlane_b32 s5, v39
	;; [unrolled: 1-line block ×4, first 2 shown]
	v_cmp_eq_u64_e32 vcc, s[4:5], v[38:39]
	s_nop 0
	v_cmp_eq_u64_e64 s[0:1], s[6:7], v[76:77]
	s_and_b64 s[0:1], vcc, s[0:1]
	s_and_saveexec_b64 s[0:1], s[0:1]
	buffer_load_dwordx4 v[196:199], v10, s[4:7], 0 offen
                                        ; implicit-def: $vgpr10
	s_xor_b64 exec, exec, s[0:1]
	s_cbranch_execnz .LBB3_105
; %bb.106:                              ;   in Loop: Header=BB3_64 Depth=1
	s_mov_b64 exec, s[2:3]
	v_add_u32_e32 v10, 1, v61
	flat_store_dword v[14:15], v10 offset:4
	flat_load_dword v10, v[12:13] offset:16
	s_mov_b64 s[2:3], exec
	s_waitcnt vmcnt(0) lgkmcnt(0)
	v_add_u32_e32 v10, v10, v60
	v_lshrrev_b32_e32 v11, 31, v10
	v_add_u32_e32 v11, v10, v11
	v_ashrrev_i32_e32 v11, 1, v11
	flat_store_dword v[14:15], v10
.LBB3_107:                              ;   Parent Loop BB3_64 Depth=1
                                        ; =>  This Inner Loop Header: Depth=2
	v_readfirstlane_b32 s4, v38
	v_readfirstlane_b32 s5, v39
	v_readfirstlane_b32 s6, v76
	v_readfirstlane_b32 s7, v77
	v_cmp_eq_u64_e32 vcc, s[4:5], v[38:39]
	s_nop 0
	v_cmp_eq_u64_e64 s[0:1], s[6:7], v[76:77]
	s_and_b64 s[0:1], vcc, s[0:1]
	s_and_saveexec_b64 s[0:1], s[0:1]
	buffer_load_dwordx4 v[192:195], v11, s[4:7], 0 offen
                                        ; implicit-def: $vgpr11
	s_xor_b64 exec, exec, s[0:1]
	s_cbranch_execnz .LBB3_107
; %bb.108:                              ;   in Loop: Header=BB3_64 Depth=1
	s_mov_b64 exec, s[2:3]
	v_add_u32_e32 v11, 2, v61
	flat_store_dword v[14:15], v11 offset:4
	flat_load_dword v11, v[12:13] offset:16
	s_mov_b64 s[2:3], exec
	s_waitcnt vmcnt(0) lgkmcnt(0)
	v_add_u32_e32 v10, v11, v10
	v_lshrrev_b32_e32 v11, 31, v10
	v_add_u32_e32 v11, v10, v11
	v_ashrrev_i32_e32 v11, 1, v11
	flat_store_dword v[14:15], v10
.LBB3_109:                              ;   Parent Loop BB3_64 Depth=1
                                        ; =>  This Inner Loop Header: Depth=2
	v_readfirstlane_b32 s4, v38
	v_readfirstlane_b32 s5, v39
	v_readfirstlane_b32 s6, v76
	v_readfirstlane_b32 s7, v77
	v_cmp_eq_u64_e32 vcc, s[4:5], v[38:39]
	s_nop 0
	v_cmp_eq_u64_e64 s[0:1], s[6:7], v[76:77]
	s_and_b64 s[0:1], vcc, s[0:1]
	s_and_saveexec_b64 s[0:1], s[0:1]
	buffer_load_dwordx4 v[180:183], v11, s[4:7], 0 offen
                                        ; implicit-def: $vgpr11
	s_xor_b64 exec, exec, s[0:1]
	s_cbranch_execnz .LBB3_109
	;; [unrolled: 27-line block ×6, first 2 shown]
; %bb.118:                              ;   in Loop: Header=BB3_64 Depth=1
	s_mov_b64 exec, s[2:3]
	v_add_u32_e32 v11, 7, v61
	flat_store_dword v[14:15], v11 offset:4
	flat_load_dword v11, v[12:13] offset:16
	s_mov_b64 s[2:3], exec
	s_waitcnt vmcnt(0) lgkmcnt(0)
	v_add_u32_e32 v56, v11, v10
	v_lshrrev_b32_e32 v10, 31, v56
	v_add_u32_e32 v10, v56, v10
	v_ashrrev_i32_e32 v10, 1, v10
	flat_store_dword v[14:15], v56
.LBB3_119:                              ;   Parent Loop BB3_64 Depth=1
                                        ; =>  This Inner Loop Header: Depth=2
	v_readfirstlane_b32 s4, v38
	v_readfirstlane_b32 s5, v39
	;; [unrolled: 1-line block ×4, first 2 shown]
	v_cmp_eq_u64_e32 vcc, s[4:5], v[38:39]
	s_nop 0
	v_cmp_eq_u64_e64 s[0:1], s[6:7], v[76:77]
	s_and_b64 s[0:1], vcc, s[0:1]
	s_and_saveexec_b64 s[0:1], s[0:1]
	buffer_load_dwordx4 v[160:163], v10, s[4:7], 0 offen
                                        ; implicit-def: $vgpr10
                                        ; implicit-def: $vgpr38_vgpr39
	s_xor_b64 exec, exec, s[0:1]
	s_cbranch_execnz .LBB3_119
; %bb.120:                              ;   in Loop: Header=BB3_64 Depth=1
	s_mov_b64 exec, s[2:3]
	flat_store_dword v[14:15], v61 offset:4
	flat_load_dword v10, v[12:13] offset:16
	s_waitcnt vmcnt(0) lgkmcnt(0)
	v_mad_u64_u32 v[38:39], s[0:1], v10, -7, v[56:57]
	v_accvgpr_read_b32 v10, a42
	flat_store_dword v[14:15], v38
	v_accvgpr_read_b32 v11, a43
	flat_load_dwordx4 v[56:59], v[10:11]
	s_nop 0
	flat_load_dwordx2 v[10:11], v[14:15] offset:12
	s_waitcnt vmcnt(0) lgkmcnt(0)
	v_mov_b32_e32 v72, v57
	v_mov_b32_e32 v73, v58
	v_or_b32_e32 v17, v57, v58
	v_add_u32_e32 v16, v61, v56
	v_add_u32_e32 v19, v11, v59
	v_or3_b32 v11, v17, v56, v59
	v_pk_mov_b32 v[60:61], v[72:73], v[72:73] op_sel:[1,0]
	v_cmp_ne_u32_e32 vcc, 0, v11
	v_add_u32_e32 v17, v62, v61
	v_add_u32_e32 v18, v10, v60
	flat_store_dwordx4 v[14:15], v[16:19] offset:4
	s_and_saveexec_b64 s[0:1], vcc
	s_cbranch_execz .LBB3_122
; %bb.121:                              ;   in Loop: Header=BB3_64 Depth=1
	flat_load_dwordx3 v[16:18], v[12:13] offset:16
	s_waitcnt vmcnt(0) lgkmcnt(0)
	v_mul_lo_u32 v10, v16, v56
	v_mul_lo_u32 v11, v18, v73
	;; [unrolled: 1-line block ×3, first 2 shown]
	v_add3_u32 v10, v59, v38, v10
	v_add3_u32 v10, v10, v16, v11
	flat_store_dword v[14:15], v10
.LBB3_122:                              ;   in Loop: Header=BB3_64 Depth=1
	s_or_b64 exec, exec, s[0:1]
	flat_load_dwordx4 a[8:11], v[20:21] offset:112
	s_waitcnt vmcnt(0) lgkmcnt(0)
	v_mfma_f32_16x16x128_f8f6f4 a[8:11], a[0:7], v[128:135], a[8:11]
	flat_load_dwordx4 a[12:15], v[20:21]
	s_nop 10
	flat_store_dwordx4 v[20:21], a[8:11] offset:112
	s_waitcnt vmcnt(0) lgkmcnt(0)
	v_mfma_f32_16x16x128_f8f6f4 a[12:15], a[0:7], v[30:37], a[12:15]
	flat_load_dwordx4 a[16:19], v[20:21] offset:16
	s_nop 10
	flat_store_dwordx4 v[20:21], a[12:15]
	s_waitcnt vmcnt(0) lgkmcnt(0)
	v_mfma_f32_16x16x128_f8f6f4 a[16:19], a[0:7], v[48:55], a[16:19]
	flat_load_dwordx4 a[20:23], v[20:21] offset:32
	s_nop 10
	flat_store_dwordx4 v[20:21], a[16:19] offset:16
	s_waitcnt vmcnt(0) lgkmcnt(0)
	v_mfma_f32_16x16x128_f8f6f4 a[20:23], a[0:7], v[64:71], a[20:23]
	flat_load_dwordx4 a[24:27], v[20:21] offset:48
	s_nop 10
	flat_store_dwordx4 v[20:21], a[20:23] offset:32
	;; [unrolled: 5-line block ×5, first 2 shown]
	s_waitcnt vmcnt(0) lgkmcnt(0)
	v_mfma_f32_16x16x128_f8f6f4 a[0:3], a[0:7], v[22:29], a[36:39]
	; sched_group_barrier mask(0x00000008) size(1) SyncID(0)
	; sched_group_barrier mask(0x00000020) size(1) SyncID(0)
	;; [unrolled: 1-line block ×20, first 2 shown]
	s_nop 11
	flat_store_dwordx4 v[20:21], a[0:3] offset:96
	flat_load_dwordx2 v[10:11], v[0:1] offset:1148
	flat_load_dwordx2 v[26:27], v[0:1] offset:1164
	flat_load_dwordx4 v[16:19], v[0:1] offset:1176
	flat_load_dwordx3 v[22:24], v[0:1] offset:1132
	flat_load_dwordx2 v[28:29], v[8:9] offset:16
	s_waitcnt vmcnt(0) lgkmcnt(0)
	v_sub_u32_e32 v10, v10, v27
	v_add_u32_e32 v19, 16, v19
	v_add_u32_e32 v16, v26, v16
	v_add3_u32 v10, v10, v17, 32
	v_sub_u32_e32 v25, v11, v26
	v_ashrrev_i32_e32 v17, 31, v19
	v_sub_u32_e32 v11, v11, v16
	v_ashrrev_i32_e32 v16, 31, v10
	v_lshrrev_b32_e32 v17, 28, v17
	v_lshrrev_b32_e32 v16, 29, v16
	v_sub_u32_e32 v24, v10, v24
	v_add_u32_e32 v17, v19, v17
	v_add_u32_e32 v16, v10, v16
	v_lshl_add_u32 v22, v24, 7, v22
	v_lshrrev_b32_e32 v24, 4, v17
	v_and_b32_e32 v16, -8, v16
	v_add_u32_e32 v11, v11, v24
	v_sub_u32_e32 v10, v10, v16
	v_xor_b32_e32 v16, v10, v25
	v_xor_b32_e32 v10, v11, v10
	v_and_b32_e32 v17, -16, v17
	v_sub_u32_e32 v11, v16, v23
	v_sub_u32_e32 v16, v10, v23
	;; [unrolled: 1-line block ×4, first 2 shown]
	v_lshl_add_u32 v10, v11, 4, v22
	v_lshlrev_b32_e32 v16, 4, v16
	v_ashrrev_i32_e32 v11, 31, v10
	v_add3_u32 v16, v18, v17, v16
	v_lshl_add_u64 v[10:11], v[28:29], 0, v[10:11]
	v_ashrrev_i32_e32 v17, 31, v16
	flat_load_dwordx4 a[0:3], v[10:11]
	v_lshl_add_u64 v[10:11], v[28:29], 0, v[16:17]
	flat_load_dwordx4 a[4:7], v[10:11]
	v_mov_b32_e32 v10, v208
	;;#ASMSTART
	v_cvt_off_f32_i4 v11, v10
v_cvt_off_f32_i4 v16, v10, src0_sel:BYTE_2
v_cvt_pk_fp8_f32 v22, v11, v16
v_cvt_off_f32_i4 v11, v10, src0_sel:BYTE_1
v_cvt_off_f32_i4 v16, v10, src0_sel:BYTE_3
v_cvt_pk_fp8_f32 v23, v11, v16
v_lshrrev_b32 v17, 4, v10
v_cvt_off_f32_i4 v11, v17
v_cvt_off_f32_i4 v16, v17, src0_sel:BYTE_2
v_cvt_pk_fp8_f32 v22, v11, v16, op_sel:[0, 0, 1]
v_cvt_off_f32_i4 v11, v17, src0_sel:BYTE_1
v_cvt_off_f32_i4 v16, v17, src0_sel:BYTE_3
v_cvt_pk_fp8_f32 v23, v11, v16, op_sel:[0, 0, 1]

	;;#ASMEND
	s_nop 0
	v_mov_b32_e32 v10, v209
	;;#ASMSTART
	v_cvt_off_f32_i4 v11, v10
v_cvt_off_f32_i4 v16, v10, src0_sel:BYTE_2
v_cvt_pk_fp8_f32 v24, v11, v16
v_cvt_off_f32_i4 v11, v10, src0_sel:BYTE_1
v_cvt_off_f32_i4 v16, v10, src0_sel:BYTE_3
v_cvt_pk_fp8_f32 v25, v11, v16
v_lshrrev_b32 v17, 4, v10
v_cvt_off_f32_i4 v11, v17
v_cvt_off_f32_i4 v16, v17, src0_sel:BYTE_2
v_cvt_pk_fp8_f32 v24, v11, v16, op_sel:[0, 0, 1]
v_cvt_off_f32_i4 v11, v17, src0_sel:BYTE_1
v_cvt_off_f32_i4 v16, v17, src0_sel:BYTE_3
v_cvt_pk_fp8_f32 v25, v11, v16, op_sel:[0, 0, 1]

	;;#ASMEND
	s_nop 0
	;; [unrolled: 18-line block ×31, first 2 shown]
	v_mov_b32_e32 v10, v47
	;;#ASMSTART
	v_cvt_off_f32_i4 v11, v10
v_cvt_off_f32_i4 v16, v10, src0_sel:BYTE_2
v_cvt_pk_fp8_f32 v134, v11, v16
v_cvt_off_f32_i4 v11, v10, src0_sel:BYTE_1
v_cvt_off_f32_i4 v16, v10, src0_sel:BYTE_3
v_cvt_pk_fp8_f32 v135, v11, v16
v_lshrrev_b32 v17, 4, v10
v_cvt_off_f32_i4 v11, v17
v_cvt_off_f32_i4 v16, v17, src0_sel:BYTE_2
v_cvt_pk_fp8_f32 v134, v11, v16, op_sel:[0, 0, 1]
v_cvt_off_f32_i4 v11, v17, src0_sel:BYTE_1
v_cvt_off_f32_i4 v16, v17, src0_sel:BYTE_3
v_cvt_pk_fp8_f32 v135, v11, v16, op_sel:[0, 0, 1]

	;;#ASMEND
	; sched_barrier mask(0x00000000)
	flat_load_ubyte v10, v[4:5] offset:304
	flat_load_ubyte v11, v[4:5] offset:320
	;; [unrolled: 1-line block ×7, first 2 shown]
	flat_load_dwordx4 v[16:19], v[4:5] offset:16
	flat_load_dwordx4 v[56:59], v[4:5] offset:32
	;; [unrolled: 1-line block ×7, first 2 shown]
	flat_load_ubyte v76, v[4:5] offset:288
	flat_load_dwordx4 v[120:123], v[4:5]
	; sched_group_barrier mask(0x00000008) size(0) SyncID(0)
	; sched_group_barrier mask(0x00000200) size(1) SyncID(0)
	s_waitcnt vmcnt(0) lgkmcnt(0)
	v_and_b32_e32 v10, 1, v10
	v_and_b32_e32 v11, 1, v11
	;; [unrolled: 1-line block ×7, first 2 shown]
	v_cmp_eq_u32_e32 vcc, 1, v10
	v_cmp_eq_u32_e64 s[0:1], 1, v11
	v_cmp_eq_u32_e64 s[2:3], 1, v38
	;; [unrolled: 1-line block ×6, first 2 shown]
	v_cndmask_b32_e32 v19, 0, v19, vcc
	v_cndmask_b32_e32 v18, 0, v18, vcc
	;; [unrolled: 1-line block ×4, first 2 shown]
	v_cndmask_b32_e64 v57, 0, v57, s[0:1]
	v_cndmask_b32_e64 v56, 0, v56, s[0:1]
	;; [unrolled: 1-line block ×24, first 2 shown]
	flat_store_dwordx4 v[4:5], v[16:19] offset:16
	flat_store_dwordx4 v[4:5], v[56:59] offset:32
	;; [unrolled: 1-line block ×7, first 2 shown]
	flat_load_dwordx2 v[124:125], v[4:5] offset:27
	flat_load_dwordx2 v[136:137], v[4:5] offset:43
	;; [unrolled: 1-line block ×6, first 2 shown]
	v_and_b32_e32 v11, 1, v76
	v_cmp_eq_u32_e32 vcc, 1, v11
	v_perm_b32 v11, v18, v18, s18
	flat_store_byte_d16_hi v[4:5], v18 offset:586
	v_lshrrev_b64 v[126:127], 24, v[56:57]
	v_lshlrev_b32_e32 v18, 8, v58
	v_lshrrev_b64 v[138:139], 24, v[60:61]
	v_lshlrev_b32_e32 v19, 8, v62
	;; [unrolled: 2-line block ×6, first 2 shown]
	v_cndmask_b32_e32 v123, 0, v123, vcc
	v_cndmask_b32_e32 v122, 0, v122, vcc
	;; [unrolled: 1-line block ×4, first 2 shown]
	v_perm_b32 v16, v16, v16, s17
	v_alignbit_b32 v57, v111, v110, 24
	v_lshrrev_b32_e32 v59, 24, v111
	v_or_b32_e32 v127, v127, v18
	v_or_b32_e32 v139, v139, v19
	;; [unrolled: 1-line block ×6, first 2 shown]
	flat_load_dword v10, v[4:5] offset:728
	s_nop 0
	flat_store_dwordx4 v[4:5], v[120:123]
	flat_store_dwordx4 v[4:5], v[120:123] offset:560
	flat_store_short v[4:5], v11 offset:584
	flat_store_dwordx2 v[4:5], v[16:17] offset:576
	flat_store_byte v[4:5], v59 offset:687
	flat_store_dword v[4:5], v57 offset:683
	s_waitcnt vmcnt(0) lgkmcnt(0)
	flat_store_dwordx4 v[4:5], v[124:127] offset:587
	flat_store_dwordx4 v[4:5], v[136:139] offset:603
	;; [unrolled: 1-line block ×6, first 2 shown]
	flat_load_dwordx2 v[16:17], v[8:9]
	v_ashrrev_i32_e32 v11, 31, v10
	s_waitcnt vmcnt(0) lgkmcnt(0)
	v_lshl_add_u64 v[10:11], v[16:17], 0, v[10:11]
	flat_store_dwordx4 v[10:11], v[120:123]
	flat_load_dword v11, v[4:5] offset:776
	v_mov_b32_e32 v10, v75
	flat_load_dwordx4 v[16:19], v[4:5] offset:748
	s_waitcnt vmcnt(0) lgkmcnt(0)
	flat_load_dword v18, v[4:5] offset:764
	flat_load_dword v38, v[4:5] offset:744
	flat_load_dwordx3 v[56:58], v[4:5] offset:728
	v_add_u32_e32 v11, 1, v11
	flat_store_dwordx2 v[4:5], v[10:11] offset:760
	v_sub_u32_e32 v17, v16, v19
	s_waitcnt vmcnt(0) lgkmcnt(0)
	v_sub_u32_e32 v16, v11, v18
	v_add_u32_e32 v16, v38, v16
	v_ashrrev_i32_e32 v10, 31, v16
	v_lshrrev_b32_e32 v10, 29, v10
	v_add_u32_e32 v10, v16, v10
	v_and_b32_e32 v10, -8, v10
	v_sub_u32_e32 v10, v16, v10
	v_xor_b32_e32 v59, v17, v10
	flat_store_dword v[4:5], v11 offset:776
	v_sub_u32_e32 v11, v16, v58
	v_sub_u32_e32 v10, v59, v57
	v_lshlrev_b32_e32 v11, 7, v11
	v_lshlrev_b32_e32 v10, 4, v10
	v_mov_b32_e32 v60, v16
	v_add3_u32 v58, v11, v10, v56
	flat_store_dwordx2 v[4:5], v[16:17] offset:744
	flat_store_dwordx3 v[4:5], v[58:60] offset:728
	flat_load_dwordx2 v[10:11], v[8:9]
	s_nop 0
	flat_load_dwordx4 v[16:19], v[4:5] offset:576
	v_ashrrev_i32_e32 v59, 31, v58
	s_waitcnt vmcnt(0) lgkmcnt(0)
	v_lshl_add_u64 v[10:11], v[10:11], 0, v[58:59]
	flat_store_dwordx4 v[10:11], v[16:19]
	flat_load_dword v11, v[4:5] offset:776
	s_nop 0
	flat_load_dwordx4 v[16:19], v[4:5] offset:748
	s_waitcnt vmcnt(0) lgkmcnt(0)
	flat_load_dword v18, v[4:5] offset:764
	flat_load_dword v38, v[4:5] offset:744
	flat_load_dwordx3 v[56:58], v[4:5] offset:728
	v_mov_b32_e32 v10, v75
	v_add_u32_e32 v11, 1, v11
	v_sub_u32_e32 v17, v16, v19
	s_waitcnt vmcnt(0) lgkmcnt(0)
	v_sub_u32_e32 v16, v11, v18
	v_add_u32_e32 v16, v38, v16
	flat_store_dwordx2 v[4:5], v[10:11] offset:760
	v_ashrrev_i32_e32 v10, 31, v16
	v_lshrrev_b32_e32 v10, 29, v10
	v_add_u32_e32 v10, v16, v10
	v_and_b32_e32 v10, -8, v10
	v_sub_u32_e32 v10, v16, v10
	v_xor_b32_e32 v59, v17, v10
	flat_store_dword v[4:5], v11 offset:776
	v_sub_u32_e32 v11, v16, v58
	v_sub_u32_e32 v10, v59, v57
	v_lshlrev_b32_e32 v11, 7, v11
	v_lshlrev_b32_e32 v10, 4, v10
	v_mov_b32_e32 v60, v16
	v_add3_u32 v58, v11, v10, v56
	flat_store_dwordx2 v[4:5], v[16:17] offset:744
	flat_store_dwordx3 v[4:5], v[58:60] offset:728
	flat_load_dwordx2 v[10:11], v[8:9]
	s_nop 0
	flat_load_dwordx4 v[16:19], v[4:5] offset:592
	v_ashrrev_i32_e32 v59, 31, v58
	s_waitcnt vmcnt(0) lgkmcnt(0)
	v_lshl_add_u64 v[10:11], v[10:11], 0, v[58:59]
	flat_store_dwordx4 v[10:11], v[16:19]
	flat_load_dword v11, v[4:5] offset:776
	s_nop 0
	flat_load_dwordx4 v[16:19], v[4:5] offset:748
	s_waitcnt vmcnt(0) lgkmcnt(0)
	flat_load_dword v18, v[4:5] offset:764
	flat_load_dword v38, v[4:5] offset:744
	flat_load_dwordx3 v[56:58], v[4:5] offset:728
	v_mov_b32_e32 v10, v75
	v_add_u32_e32 v11, 1, v11
	v_sub_u32_e32 v17, v16, v19
	s_waitcnt vmcnt(0) lgkmcnt(0)
	v_sub_u32_e32 v16, v11, v18
	v_add_u32_e32 v16, v38, v16
	flat_store_dwordx2 v[4:5], v[10:11] offset:760
	;; [unrolled: 36-line block ×6, first 2 shown]
	v_ashrrev_i32_e32 v10, 31, v16
	v_lshrrev_b32_e32 v10, 29, v10
	v_add_u32_e32 v10, v16, v10
	v_and_b32_e32 v10, -8, v10
	v_sub_u32_e32 v10, v16, v10
	v_xor_b32_e32 v59, v17, v10
	flat_store_dword v[4:5], v11 offset:776
	v_sub_u32_e32 v11, v16, v58
	v_sub_u32_e32 v10, v59, v57
	v_lshlrev_b32_e32 v11, 7, v11
	v_lshlrev_b32_e32 v10, 4, v10
	v_mov_b32_e32 v60, v16
	v_add3_u32 v58, v11, v10, v56
	flat_store_dwordx2 v[4:5], v[16:17] offset:744
	flat_store_dwordx3 v[4:5], v[58:60] offset:728
	flat_load_dwordx2 v[10:11], v[8:9]
	v_mov_b32_e32 v56, v75
	flat_load_dwordx4 v[16:19], v[4:5] offset:672
	v_ashrrev_i32_e32 v59, 31, v58
	s_waitcnt vmcnt(0) lgkmcnt(0)
	v_lshl_add_u64 v[10:11], v[10:11], 0, v[58:59]
	flat_store_dwordx4 v[10:11], v[16:19]
	flat_load_dword v19, v[4:5] offset:776
	s_nop 0
	flat_load_dwordx2 v[10:11], v[4:5] offset:760
	flat_load_dwordx2 v[38:39], v[4:5] offset:744
	flat_load_dwordx3 v[16:18], v[4:5] offset:728
	s_waitcnt vmcnt(0) lgkmcnt(0)
	v_add_u32_e32 v57, -7, v19
	flat_store_dword v[4:5], v57 offset:776
	v_sub_u32_e32 v39, v39, v10
	v_sub_u32_e32 v10, v57, v11
	v_add_u32_e32 v38, v38, v10
	v_ashrrev_i32_e32 v10, 31, v38
	v_lshrrev_b32_e32 v10, 29, v10
	v_add_u32_e32 v10, v38, v10
	v_and_b32_e32 v10, -8, v10
	v_sub_u32_e32 v10, v38, v10
	flat_store_dwordx2 v[4:5], v[56:57] offset:760
	v_xor_b32_e32 v57, v39, v10
	v_sub_u32_e32 v11, v38, v18
	v_sub_u32_e32 v10, v57, v17
	v_lshlrev_b32_e32 v11, 7, v11
	v_lshlrev_b32_e32 v10, 4, v10
	v_mov_b32_e32 v58, v38
	v_add3_u32 v56, v11, v10, v16
	flat_store_dwordx2 v[4:5], v[38:39] offset:744
	flat_store_dwordx3 v[4:5], v[56:58] offset:728
	flat_load_dwordx4 a[8:11], v[20:21] offset:128
	flat_load_dwordx4 a[12:15], v[20:21] offset:144
	flat_load_dwordx4 a[16:19], v[20:21] offset:160
	flat_load_dwordx4 a[20:23], v[20:21] offset:176
	flat_load_dwordx4 a[24:27], v[20:21] offset:192
	flat_load_dwordx4 a[28:31], v[20:21] offset:208
	flat_load_dwordx4 a[32:35], v[20:21] offset:224
	flat_load_dwordx4 a[36:39], v[20:21] offset:240
	s_waitcnt vmcnt(0) lgkmcnt(0)
	v_mfma_f32_16x16x128_f8f6f4 a[8:11], a[0:7], v[22:29], a[8:11]
	; sched_group_barrier mask(0x00000008) size(1) SyncID(0)
	; sched_group_barrier mask(0x00000100) size(1) SyncID(0)
	;; [unrolled: 1-line block ×4, first 2 shown]
	s_nop 11
	flat_store_dwordx4 v[20:21], a[8:11] offset:128
	v_mfma_f32_16x16x128_f8f6f4 a[12:15], a[0:7], v[30:37], a[12:15]
	; sched_group_barrier mask(0x00000008) size(1) SyncID(0)
	; sched_group_barrier mask(0x00000100) size(1) SyncID(0)
	v_mfma_f32_16x16x128_f8f6f4 a[16:19], a[0:7], v[48:55], a[16:19]
	; sched_group_barrier mask(0x00000008) size(1) SyncID(0)
	; sched_group_barrier mask(0x00000200) size(1) SyncID(0)
	s_nop 10
	flat_store_dwordx4 v[20:21], a[12:15] offset:144
	v_mfma_f32_16x16x128_f8f6f4 a[20:23], a[0:7], v[64:71], a[20:23]
	; sched_group_barrier mask(0x00000008) size(1) SyncID(0)
	; sched_group_barrier mask(0x00000200) size(1) SyncID(0)
	flat_store_dwordx4 v[20:21], a[16:19] offset:160
	v_mfma_f32_16x16x128_f8f6f4 a[24:27], a[0:7], v[80:87], a[24:27]
	; sched_group_barrier mask(0x00000008) size(1) SyncID(0)
	; sched_group_barrier mask(0x00000200) size(1) SyncID(0)
	s_nop 9
	flat_store_dwordx4 v[20:21], a[20:23] offset:176
	v_mfma_f32_16x16x128_f8f6f4 a[28:31], a[0:7], v[96:103], a[28:31]
	; sched_group_barrier mask(0x00000008) size(1) SyncID(0)
	; sched_group_barrier mask(0x00000200) size(1) SyncID(0)
	flat_store_dwordx4 v[20:21], a[24:27] offset:192
	;; [unrolled: 9-line block ×3, first 2 shown]
	s_nop 10
	flat_store_dwordx4 v[20:21], a[0:3] offset:240
	flat_load_dwordx2 v[10:11], v[0:1] offset:1148
	flat_load_dwordx2 v[26:27], v[0:1] offset:1164
	flat_load_dwordx4 v[16:19], v[0:1] offset:1176
	flat_load_dwordx3 v[22:24], v[0:1] offset:1132
	flat_load_dwordx2 v[28:29], v[8:9] offset:16
	s_waitcnt vmcnt(0) lgkmcnt(0)
	v_sub_u32_e32 v10, v10, v27
	v_add_u32_e32 v19, 16, v19
	v_add_u32_e32 v16, v26, v16
	v_add3_u32 v10, v10, v17, 64
	v_sub_u32_e32 v25, v11, v26
	v_ashrrev_i32_e32 v17, 31, v19
	v_sub_u32_e32 v11, v11, v16
	v_ashrrev_i32_e32 v16, 31, v10
	v_lshrrev_b32_e32 v17, 28, v17
	v_lshrrev_b32_e32 v16, 29, v16
	v_sub_u32_e32 v24, v10, v24
	v_add_u32_e32 v17, v19, v17
	v_add_u32_e32 v16, v10, v16
	v_lshl_add_u32 v22, v24, 7, v22
	v_lshrrev_b32_e32 v24, 4, v17
	v_and_b32_e32 v16, -8, v16
	v_add_u32_e32 v11, v11, v24
	v_sub_u32_e32 v10, v10, v16
	v_xor_b32_e32 v16, v10, v25
	v_xor_b32_e32 v10, v11, v10
	v_and_b32_e32 v17, -16, v17
	v_sub_u32_e32 v11, v16, v23
	v_sub_u32_e32 v16, v10, v23
	;; [unrolled: 1-line block ×4, first 2 shown]
	v_lshl_add_u32 v10, v11, 4, v22
	v_lshlrev_b32_e32 v16, 4, v16
	v_ashrrev_i32_e32 v11, 31, v10
	v_add3_u32 v16, v18, v17, v16
	v_lshl_add_u64 v[10:11], v[28:29], 0, v[10:11]
	v_ashrrev_i32_e32 v17, 31, v16
	flat_load_dwordx4 a[0:3], v[10:11]
	v_lshl_add_u64 v[10:11], v[28:29], 0, v[16:17]
	flat_load_dwordx4 a[4:7], v[10:11]
	v_mov_b32_e32 v10, v208
	;;#ASMSTART
	v_cvt_off_f32_i4 v11, v10
v_cvt_off_f32_i4 v16, v10, src0_sel:BYTE_2
v_cvt_pk_fp8_f32 v112, v11, v16
v_cvt_off_f32_i4 v11, v10, src0_sel:BYTE_1
v_cvt_off_f32_i4 v16, v10, src0_sel:BYTE_3
v_cvt_pk_fp8_f32 v113, v11, v16
v_lshrrev_b32 v17, 4, v10
v_cvt_off_f32_i4 v11, v17
v_cvt_off_f32_i4 v16, v17, src0_sel:BYTE_2
v_cvt_pk_fp8_f32 v112, v11, v16, op_sel:[0, 0, 1]
v_cvt_off_f32_i4 v11, v17, src0_sel:BYTE_1
v_cvt_off_f32_i4 v16, v17, src0_sel:BYTE_3
v_cvt_pk_fp8_f32 v113, v11, v16, op_sel:[0, 0, 1]

	;;#ASMEND
	s_nop 0
	v_mov_b32_e32 v10, v209
	;;#ASMSTART
	v_cvt_off_f32_i4 v11, v10
v_cvt_off_f32_i4 v16, v10, src0_sel:BYTE_2
v_cvt_pk_fp8_f32 v114, v11, v16
v_cvt_off_f32_i4 v11, v10, src0_sel:BYTE_1
v_cvt_off_f32_i4 v16, v10, src0_sel:BYTE_3
v_cvt_pk_fp8_f32 v115, v11, v16
v_lshrrev_b32 v17, 4, v10
v_cvt_off_f32_i4 v11, v17
v_cvt_off_f32_i4 v16, v17, src0_sel:BYTE_2
v_cvt_pk_fp8_f32 v114, v11, v16, op_sel:[0, 0, 1]
v_cvt_off_f32_i4 v11, v17, src0_sel:BYTE_1
v_cvt_off_f32_i4 v16, v17, src0_sel:BYTE_3
v_cvt_pk_fp8_f32 v115, v11, v16, op_sel:[0, 0, 1]

	;;#ASMEND
	s_nop 0
	;; [unrolled: 18-line block ×31, first 2 shown]
	v_mov_b32_e32 v10, v47
	;;#ASMSTART
	v_cvt_off_f32_i4 v11, v10
v_cvt_off_f32_i4 v16, v10, src0_sel:BYTE_2
v_cvt_pk_fp8_f32 v102, v11, v16
v_cvt_off_f32_i4 v11, v10, src0_sel:BYTE_1
v_cvt_off_f32_i4 v16, v10, src0_sel:BYTE_3
v_cvt_pk_fp8_f32 v103, v11, v16
v_lshrrev_b32 v17, 4, v10
v_cvt_off_f32_i4 v11, v17
v_cvt_off_f32_i4 v16, v17, src0_sel:BYTE_2
v_cvt_pk_fp8_f32 v102, v11, v16, op_sel:[0, 0, 1]
v_cvt_off_f32_i4 v11, v17, src0_sel:BYTE_1
v_cvt_off_f32_i4 v16, v17, src0_sel:BYTE_3
v_cvt_pk_fp8_f32 v103, v11, v16, op_sel:[0, 0, 1]

	;;#ASMEND
	; sched_barrier mask(0x00000000)
	s_nop 0
	v_mov_b32_e32 v10, 1
	flat_store_byte v[4:5], v10 offset:288
	flat_load_dwordx4 v[56:59], v[6:7]
	flat_load_dwordx2 v[38:39], v[4:5] offset:704
	s_waitcnt vmcnt(0) lgkmcnt(0)
	v_mov_b32_e32 v59, v77
	s_mov_b64 s[2:3], exec
	v_and_b32_e32 v57, 0xffff, v57
.LBB3_123:                              ;   Parent Loop BB3_64 Depth=1
                                        ; =>  This Inner Loop Header: Depth=2
	v_readfirstlane_b32 s4, v56
	v_readfirstlane_b32 s5, v57
	;; [unrolled: 1-line block ×4, first 2 shown]
	v_cmp_eq_u64_e32 vcc, s[4:5], v[56:57]
	s_nop 0
	v_cmp_eq_u64_e64 s[0:1], s[6:7], v[58:59]
	s_and_b64 s[0:1], vcc, s[0:1]
	s_and_saveexec_b64 s[0:1], s[0:1]
	buffer_load_dwordx4 v[60:63], v38, s[4:7], 0 offen
                                        ; implicit-def: $vgpr56_vgpr57_vgpr58_vgpr59
	s_xor_b64 exec, exec, s[0:1]
	s_cbranch_execnz .LBB3_123
; %bb.124:                              ;   in Loop: Header=BB3_64 Depth=1
	s_mov_b64 exec, s[2:3]
	flat_load_dwordx3 v[72:74], v[4:5] offset:716
	v_add_u32_e32 v10, 1, v39
	flat_store_dword v[4:5], v10 offset:708
	s_waitcnt vmcnt(0)
	flat_store_dwordx4 v[4:5], v[60:63]
	v_mov_b32_e32 v11, 1
	flat_store_byte v[4:5], v11 offset:304
	s_mov_b64 s[2:3], exec
	s_waitcnt lgkmcnt(0)
	v_add_u32_e32 v10, 1, v74
	flat_store_dword v[4:5], v10 offset:724
	flat_load_dword v10, v[2:3] offset:8
	s_waitcnt vmcnt(0) lgkmcnt(0)
	v_add_u32_e32 v10, v10, v38
	flat_store_dword v[4:5], v10 offset:704
	flat_load_dwordx4 v[56:59], v[6:7]
	s_waitcnt vmcnt(0) lgkmcnt(0)
	v_mov_b32_e32 v59, v77
	v_and_b32_e32 v57, 0xffff, v57
.LBB3_125:                              ;   Parent Loop BB3_64 Depth=1
                                        ; =>  This Inner Loop Header: Depth=2
	v_readfirstlane_b32 s4, v56
	v_readfirstlane_b32 s5, v57
	v_readfirstlane_b32 s6, v58
	v_readfirstlane_b32 s7, v59
	v_cmp_eq_u64_e32 vcc, s[4:5], v[56:57]
	s_nop 0
	v_cmp_eq_u64_e64 s[0:1], s[6:7], v[58:59]
	s_and_b64 s[0:1], vcc, s[0:1]
	s_and_saveexec_b64 s[0:1], s[0:1]
	buffer_load_dwordx4 v[60:63], v10, s[4:7], 0 offen
                                        ; implicit-def: $vgpr56_vgpr57_vgpr58_vgpr59
	s_xor_b64 exec, exec, s[0:1]
	s_cbranch_execnz .LBB3_125
; %bb.126:                              ;   in Loop: Header=BB3_64 Depth=1
	s_mov_b64 exec, s[2:3]
	v_add_u32_e32 v11, 2, v74
	flat_store_dword v[4:5], v11 offset:724
	v_add_u32_e32 v11, 2, v39
	s_waitcnt vmcnt(0)
	flat_store_dwordx4 v[4:5], v[60:63] offset:16
	flat_store_dword v[4:5], v11 offset:708
	flat_load_dword v11, v[2:3] offset:8
	v_mov_b32_e32 v16, 1
	flat_store_byte v[4:5], v16 offset:320
	s_mov_b64 s[2:3], exec
	s_waitcnt vmcnt(0) lgkmcnt(0)
	v_add_u32_e32 v10, v11, v10
	flat_store_dword v[4:5], v10 offset:704
	flat_load_dwordx4 v[56:59], v[6:7]
	s_waitcnt vmcnt(0) lgkmcnt(0)
	v_mov_b32_e32 v59, v77
	v_and_b32_e32 v57, 0xffff, v57
.LBB3_127:                              ;   Parent Loop BB3_64 Depth=1
                                        ; =>  This Inner Loop Header: Depth=2
	v_readfirstlane_b32 s4, v56
	v_readfirstlane_b32 s5, v57
	v_readfirstlane_b32 s6, v58
	v_readfirstlane_b32 s7, v59
	v_cmp_eq_u64_e32 vcc, s[4:5], v[56:57]
	s_nop 0
	v_cmp_eq_u64_e64 s[0:1], s[6:7], v[58:59]
	s_and_b64 s[0:1], vcc, s[0:1]
	s_and_saveexec_b64 s[0:1], s[0:1]
	buffer_load_dwordx4 v[60:63], v10, s[4:7], 0 offen
                                        ; implicit-def: $vgpr56_vgpr57_vgpr58_vgpr59
	s_xor_b64 exec, exec, s[0:1]
	s_cbranch_execnz .LBB3_127
; %bb.128:                              ;   in Loop: Header=BB3_64 Depth=1
	s_mov_b64 exec, s[2:3]
	v_add_u32_e32 v11, 3, v74
	flat_store_dword v[4:5], v11 offset:724
	v_add_u32_e32 v11, 3, v39
	s_waitcnt vmcnt(0)
	flat_store_dwordx4 v[4:5], v[60:63] offset:32
	flat_store_dword v[4:5], v11 offset:708
	flat_load_dword v11, v[2:3] offset:8
	v_mov_b32_e32 v16, 1
	flat_store_byte v[4:5], v16 offset:336
	s_mov_b64 s[2:3], exec
	;; [unrolled: 34-line block ×5, first 2 shown]
	s_waitcnt vmcnt(0) lgkmcnt(0)
	v_add_u32_e32 v10, v11, v10
	flat_store_dword v[4:5], v10 offset:704
	flat_load_dwordx4 v[56:59], v[6:7]
	s_waitcnt vmcnt(0) lgkmcnt(0)
	v_mov_b32_e32 v59, v77
	v_and_b32_e32 v57, 0xffff, v57
.LBB3_135:                              ;   Parent Loop BB3_64 Depth=1
                                        ; =>  This Inner Loop Header: Depth=2
	v_readfirstlane_b32 s4, v56
	v_readfirstlane_b32 s5, v57
	v_readfirstlane_b32 s6, v58
	v_readfirstlane_b32 s7, v59
	v_cmp_eq_u64_e32 vcc, s[4:5], v[56:57]
	s_nop 0
	v_cmp_eq_u64_e64 s[0:1], s[6:7], v[58:59]
	s_and_b64 s[0:1], vcc, s[0:1]
	s_and_saveexec_b64 s[0:1], s[0:1]
	buffer_load_dwordx4 v[60:63], v10, s[4:7], 0 offen
                                        ; implicit-def: $vgpr56_vgpr57_vgpr58_vgpr59
	s_xor_b64 exec, exec, s[0:1]
	s_cbranch_execnz .LBB3_135
; %bb.136:                              ;   in Loop: Header=BB3_64 Depth=1
	s_mov_b64 exec, s[2:3]
	v_add_u32_e32 v11, 7, v74
	flat_store_dword v[4:5], v11 offset:724
	v_add_u32_e32 v11, 7, v39
	s_waitcnt vmcnt(0)
	flat_store_dwordx4 v[4:5], v[60:63] offset:96
	flat_store_dword v[4:5], v11 offset:708
	flat_load_dword v11, v[2:3] offset:8
	s_mov_b64 s[2:3], exec
	s_waitcnt vmcnt(0) lgkmcnt(0)
	v_add_u32_e32 v10, v11, v10
	flat_store_dword v[4:5], v10 offset:704
	flat_load_dwordx4 v[56:59], v[6:7]
	v_mov_b32_e32 v11, 1
	s_waitcnt vmcnt(0) lgkmcnt(0)
	v_mov_b32_e32 v59, v77
	flat_store_byte v[4:5], v11 offset:400
	v_and_b32_e32 v57, 0xffff, v57
.LBB3_137:                              ;   Parent Loop BB3_64 Depth=1
                                        ; =>  This Inner Loop Header: Depth=2
	v_readfirstlane_b32 s4, v56
	v_readfirstlane_b32 s5, v57
	v_readfirstlane_b32 s6, v58
	v_readfirstlane_b32 s7, v59
	v_cmp_eq_u64_e32 vcc, s[4:5], v[56:57]
	s_nop 0
	v_cmp_eq_u64_e64 s[0:1], s[6:7], v[58:59]
	s_and_b64 s[0:1], vcc, s[0:1]
	s_and_saveexec_b64 s[0:1], s[0:1]
	buffer_load_dwordx4 v[60:63], v10, s[4:7], 0 offen
                                        ; implicit-def: $vgpr56_vgpr57_vgpr58_vgpr59
	s_xor_b64 exec, exec, s[0:1]
	s_cbranch_execnz .LBB3_137
; %bb.138:                              ;   in Loop: Header=BB3_64 Depth=1
	s_mov_b64 exec, s[2:3]
	v_accvgpr_read_b32 v16, a44
	s_waitcnt vmcnt(0)
	flat_store_dwordx4 v[4:5], v[60:63] offset:112
	v_accvgpr_read_b32 v17, a45
	flat_load_dwordx3 v[56:58], v[16:17]
	s_waitcnt vmcnt(0) lgkmcnt(0)
	v_add_u32_e32 v11, -7, v57
	v_add_u32_e32 v18, v57, v74
	v_add_u32_e32 v17, v73, v58
	;; [unrolled: 1-line block ×3, first 2 shown]
	v_cmp_ne_u32_e32 vcc, 0, v11
	flat_store_dwordx3 v[4:5], v[16:18] offset:716
	s_and_saveexec_b64 s[0:1], vcc
	s_cbranch_execz .LBB3_140
; %bb.139:                              ;   in Loop: Header=BB3_64 Depth=1
	v_add_u32_e32 v16, v57, v39
	flat_store_dword v[4:5], v16 offset:708
.LBB3_140:                              ;   in Loop: Header=BB3_64 Depth=1
	s_or_b64 exec, exec, s[0:1]
	v_or_b32_e32 v16, v58, v56
	v_mov_b32_e32 v38, 0
	v_cmp_ne_u32_e32 vcc, 0, v16
	s_and_saveexec_b64 s[0:1], vcc
	s_cbranch_execz .LBB3_142
; %bb.141:                              ;   in Loop: Header=BB3_64 Depth=1
	flat_load_dword v17, v[2:3] offset:24
	flat_load_dword v19, v[4:5] offset:712
	v_mov_b32_e32 v18, v58
	s_waitcnt vmcnt(0) lgkmcnt(0)
	v_mad_u64_u32 v[38:39], s[2:3], v17, v56, v[18:19]
	v_add_u32_e32 v17, v38, v19
	flat_store_dword v[4:5], v17 offset:712
.LBB3_142:                              ;   in Loop: Header=BB3_64 Depth=1
	s_or_b64 exec, exec, s[0:1]
	v_or_b32_e32 v16, v16, v11
	v_cmp_ne_u32_e32 vcc, 0, v16
	s_and_saveexec_b64 s[0:1], vcc
	s_cbranch_execz .LBB3_63
; %bb.143:                              ;   in Loop: Header=BB3_64 Depth=1
	flat_load_dword v16, v[2:3] offset:8
	s_waitcnt vmcnt(0) lgkmcnt(0)
	v_mul_lo_u32 v11, v16, v11
	v_add3_u32 v10, v38, v10, v11
	flat_store_dword v[4:5], v10 offset:704
	s_branch .LBB3_63
.LBB3_144:
	s_or_b64 exec, exec, s[14:15]
	v_accvgpr_read_b32 v6, a40
	v_accvgpr_read_b32 v7, a41
	flat_load_dwordx2 v[2:3], v[14:15]
	flat_load_dwordx4 v[56:59], v[6:7]
                                        ; kill: killed $vgpr6 killed $vgpr7
	v_mov_b32_e32 v7, 0
	s_mov_b64 s[2:3], exec
	s_waitcnt vmcnt(0) lgkmcnt(0)
	v_lshrrev_b32_e32 v10, 31, v2
	v_lshrrev_b32_e32 v6, 31, v59
	v_add_u32_e32 v16, v2, v10
	v_lshl_add_u64 v[10:11], v[58:59], 0, v[6:7]
	v_and_b32_e32 v57, 0xffff, v57
	v_mov_b32_e32 v59, 0x20000
	v_ashrrev_i32_e32 v6, 1, v16
	v_alignbit_b32 v58, v11, v10, 1
.LBB3_145:                              ; =>This Inner Loop Header: Depth=1
	v_readfirstlane_b32 s4, v56
	v_readfirstlane_b32 s5, v57
	v_readfirstlane_b32 s6, v58
	v_readfirstlane_b32 s7, v59
	v_cmp_eq_u64_e32 vcc, s[4:5], v[56:57]
	s_nop 0
	v_cmp_eq_u64_e64 s[0:1], s[6:7], v[58:59]
	s_and_b64 s[0:1], vcc, s[0:1]
	s_and_saveexec_b64 s[0:1], s[0:1]
	buffer_load_dwordx4 v[208:211], v6, s[4:7], 0 offen
                                        ; implicit-def: $vgpr6
	s_xor_b64 exec, exec, s[0:1]
	s_cbranch_execnz .LBB3_145
; %bb.146:
	s_mov_b64 exec, s[2:3]
	v_add_u32_e32 v6, 1, v3
	flat_store_dword v[14:15], v6 offset:4
	flat_load_dword v6, v[12:13] offset:16
	s_mov_b64 s[2:3], exec
	s_waitcnt vmcnt(0) lgkmcnt(0)
	v_add_u32_e32 v2, v6, v2
	v_lshrrev_b32_e32 v6, 31, v2
	v_add_u32_e32 v6, v2, v6
	v_ashrrev_i32_e32 v6, 1, v6
	flat_store_dword v[14:15], v2
.LBB3_147:                              ; =>This Inner Loop Header: Depth=1
	v_readfirstlane_b32 s4, v56
	v_readfirstlane_b32 s5, v57
	v_readfirstlane_b32 s6, v58
	v_readfirstlane_b32 s7, v59
	v_cmp_eq_u64_e32 vcc, s[4:5], v[56:57]
	s_nop 0
	v_cmp_eq_u64_e64 s[0:1], s[6:7], v[58:59]
	s_and_b64 s[0:1], vcc, s[0:1]
	s_and_saveexec_b64 s[0:1], s[0:1]
	buffer_load_dwordx4 v[212:215], v6, s[4:7], 0 offen
                                        ; implicit-def: $vgpr6
	s_xor_b64 exec, exec, s[0:1]
	s_cbranch_execnz .LBB3_147
; %bb.148:
	s_mov_b64 exec, s[2:3]
	v_add_u32_e32 v6, 2, v3
	flat_store_dword v[14:15], v6 offset:4
	flat_load_dword v6, v[12:13] offset:16
	s_mov_b64 s[2:3], exec
	s_waitcnt vmcnt(0) lgkmcnt(0)
	v_add_u32_e32 v2, v6, v2
	v_lshrrev_b32_e32 v6, 31, v2
	v_add_u32_e32 v6, v2, v6
	v_ashrrev_i32_e32 v6, 1, v6
	flat_store_dword v[14:15], v2
.LBB3_149:                              ; =>This Inner Loop Header: Depth=1
	v_readfirstlane_b32 s4, v56
	v_readfirstlane_b32 s5, v57
	v_readfirstlane_b32 s6, v58
	v_readfirstlane_b32 s7, v59
	v_cmp_eq_u64_e32 vcc, s[4:5], v[56:57]
	s_nop 0
	v_cmp_eq_u64_e64 s[0:1], s[6:7], v[58:59]
	s_and_b64 s[0:1], vcc, s[0:1]
	s_and_saveexec_b64 s[0:1], s[0:1]
	buffer_load_dwordx4 v[224:227], v6, s[4:7], 0 offen
                                        ; implicit-def: $vgpr6
	s_xor_b64 exec, exec, s[0:1]
	s_cbranch_execnz .LBB3_149
; %bb.150:
	s_mov_b64 exec, s[2:3]
	v_add_u32_e32 v6, 3, v3
	flat_store_dword v[14:15], v6 offset:4
	flat_load_dword v6, v[12:13] offset:16
	s_mov_b64 s[2:3], exec
	s_waitcnt vmcnt(0) lgkmcnt(0)
	v_add_u32_e32 v2, v6, v2
	v_lshrrev_b32_e32 v6, 31, v2
	v_add_u32_e32 v6, v2, v6
	v_ashrrev_i32_e32 v6, 1, v6
	flat_store_dword v[14:15], v2
.LBB3_151:                              ; =>This Inner Loop Header: Depth=1
	v_readfirstlane_b32 s4, v56
	v_readfirstlane_b32 s5, v57
	v_readfirstlane_b32 s6, v58
	v_readfirstlane_b32 s7, v59
	v_cmp_eq_u64_e32 vcc, s[4:5], v[56:57]
	s_nop 0
	v_cmp_eq_u64_e64 s[0:1], s[6:7], v[58:59]
	s_and_b64 s[0:1], vcc, s[0:1]
	s_and_saveexec_b64 s[0:1], s[0:1]
	buffer_load_dwordx4 v[228:231], v6, s[4:7], 0 offen
                                        ; implicit-def: $vgpr6
	s_xor_b64 exec, exec, s[0:1]
	s_cbranch_execnz .LBB3_151
; %bb.152:
	s_mov_b64 exec, s[2:3]
	v_add_u32_e32 v6, 4, v3
	flat_store_dword v[14:15], v6 offset:4
	flat_load_dword v6, v[12:13] offset:16
	s_mov_b64 s[2:3], exec
	s_waitcnt vmcnt(0) lgkmcnt(0)
	v_add_u32_e32 v2, v6, v2
	v_lshrrev_b32_e32 v6, 31, v2
	v_add_u32_e32 v6, v2, v6
	v_ashrrev_i32_e32 v6, 1, v6
	flat_store_dword v[14:15], v2
.LBB3_153:                              ; =>This Inner Loop Header: Depth=1
	v_readfirstlane_b32 s4, v56
	v_readfirstlane_b32 s5, v57
	v_readfirstlane_b32 s6, v58
	v_readfirstlane_b32 s7, v59
	v_cmp_eq_u64_e32 vcc, s[4:5], v[56:57]
	s_nop 0
	v_cmp_eq_u64_e64 s[0:1], s[6:7], v[58:59]
	s_and_b64 s[0:1], vcc, s[0:1]
	s_and_saveexec_b64 s[0:1], s[0:1]
	buffer_load_dwordx4 v[240:243], v6, s[4:7], 0 offen
                                        ; implicit-def: $vgpr6
	s_xor_b64 exec, exec, s[0:1]
	s_cbranch_execnz .LBB3_153
; %bb.154:
	s_mov_b64 exec, s[2:3]
	v_add_u32_e32 v6, 5, v3
	flat_store_dword v[14:15], v6 offset:4
	flat_load_dword v6, v[12:13] offset:16
	s_mov_b64 s[2:3], exec
	s_waitcnt vmcnt(0) lgkmcnt(0)
	v_add_u32_e32 v2, v6, v2
	v_lshrrev_b32_e32 v6, 31, v2
	v_add_u32_e32 v6, v2, v6
	v_ashrrev_i32_e32 v6, 1, v6
	flat_store_dword v[14:15], v2
.LBB3_155:                              ; =>This Inner Loop Header: Depth=1
	v_readfirstlane_b32 s4, v56
	v_readfirstlane_b32 s5, v57
	v_readfirstlane_b32 s6, v58
	v_readfirstlane_b32 s7, v59
	v_cmp_eq_u64_e32 vcc, s[4:5], v[56:57]
	s_nop 0
	v_cmp_eq_u64_e64 s[0:1], s[6:7], v[58:59]
	s_and_b64 s[0:1], vcc, s[0:1]
	s_and_saveexec_b64 s[0:1], s[0:1]
	buffer_load_dwordx4 v[244:247], v6, s[4:7], 0 offen
                                        ; implicit-def: $vgpr6
	s_xor_b64 exec, exec, s[0:1]
	s_cbranch_execnz .LBB3_155
; %bb.156:
	s_mov_b64 exec, s[2:3]
	v_add_u32_e32 v6, 6, v3
	flat_store_dword v[14:15], v6 offset:4
	flat_load_dword v6, v[12:13] offset:16
	s_mov_b64 s[2:3], exec
	s_waitcnt vmcnt(0) lgkmcnt(0)
	v_add_u32_e32 v2, v6, v2
	v_lshrrev_b32_e32 v6, 31, v2
	v_add_u32_e32 v6, v2, v6
	v_ashrrev_i32_e32 v6, 1, v6
	flat_store_dword v[14:15], v2
.LBB3_157:                              ; =>This Inner Loop Header: Depth=1
	v_readfirstlane_b32 s4, v56
	v_readfirstlane_b32 s5, v57
	v_readfirstlane_b32 s6, v58
	v_readfirstlane_b32 s7, v59
	v_cmp_eq_u64_e32 vcc, s[4:5], v[56:57]
	s_nop 0
	v_cmp_eq_u64_e64 s[0:1], s[6:7], v[58:59]
	s_and_b64 s[0:1], vcc, s[0:1]
	s_and_saveexec_b64 s[0:1], s[0:1]
	buffer_load_dwordx4 v[40:43], v6, s[4:7], 0 offen
                                        ; implicit-def: $vgpr6
	s_xor_b64 exec, exec, s[0:1]
	s_cbranch_execnz .LBB3_157
; %bb.158:
	s_mov_b64 exec, s[2:3]
	v_add_u32_e32 v6, 7, v3
	flat_store_dword v[14:15], v6 offset:4
	flat_load_dword v6, v[12:13] offset:16
	s_mov_b64 s[2:3], exec
	s_waitcnt vmcnt(0) lgkmcnt(0)
	v_add_u32_e32 v2, v6, v2
	v_lshrrev_b32_e32 v6, 31, v2
	v_add_u32_e32 v6, v2, v6
	v_ashrrev_i32_e32 v6, 1, v6
	flat_store_dword v[14:15], v2
.LBB3_159:                              ; =>This Inner Loop Header: Depth=1
	v_readfirstlane_b32 s4, v56
	v_readfirstlane_b32 s5, v57
	;; [unrolled: 1-line block ×4, first 2 shown]
	v_cmp_eq_u64_e32 vcc, s[4:5], v[56:57]
	s_nop 0
	v_cmp_eq_u64_e64 s[0:1], s[6:7], v[58:59]
	s_and_b64 s[0:1], vcc, s[0:1]
	s_and_saveexec_b64 s[0:1], s[0:1]
	buffer_load_dwordx4 v[44:47], v6, s[4:7], 0 offen
                                        ; implicit-def: $vgpr56_vgpr57_vgpr58_vgpr59
                                        ; implicit-def: $vgpr6
	s_xor_b64 exec, exec, s[0:1]
	s_cbranch_execnz .LBB3_159
; %bb.160:
	s_mov_b64 exec, s[2:3]
	flat_store_dword v[14:15], v3 offset:4
	flat_load_dword v3, v[12:13] offset:16
	; sched_group_barrier mask(0x00000008) size(1) SyncID(0)
	; sched_group_barrier mask(0x00000020) size(1) SyncID(0)
	;; [unrolled: 1-line block ×3, first 2 shown]
	s_waitcnt vmcnt(0) lgkmcnt(0)
	v_mad_u64_u32 v[2:3], s[0:1], v3, -7, v[2:3]
	flat_store_dword v[14:15], v2
	flat_load_dwordx4 a[8:11], v[20:21]
	; sched_group_barrier mask(0x00000020) size(1) SyncID(0)
	s_waitcnt vmcnt(0) lgkmcnt(0)
	v_mfma_f32_16x16x128_f8f6f4 a[8:11], a[0:7], v[32:39], a[8:11]
	flat_load_dwordx4 a[12:15], v[20:21] offset:16
	; sched_group_barrier mask(0x00000008) size(1) SyncID(0)
	; sched_group_barrier mask(0x00000020) size(1) SyncID(0)
	s_nop 10
	flat_store_dwordx4 v[20:21], a[8:11]
	s_waitcnt vmcnt(0) lgkmcnt(0)
	v_mfma_f32_16x16x128_f8f6f4 a[12:15], a[0:7], v[48:55], a[12:15]
	flat_load_dwordx4 a[16:19], v[20:21] offset:32
	; sched_group_barrier mask(0x00000008) size(1) SyncID(0)
	; sched_group_barrier mask(0x00000020) size(1) SyncID(0)
	s_nop 10
	flat_store_dwordx4 v[20:21], a[12:15] offset:16
	s_waitcnt vmcnt(0) lgkmcnt(0)
	v_mfma_f32_16x16x128_f8f6f4 a[16:19], a[0:7], v[64:71], a[16:19]
	flat_load_dwordx4 a[20:23], v[20:21] offset:48
	; sched_group_barrier mask(0x00000008) size(1) SyncID(0)
	; sched_group_barrier mask(0x00000100) size(1) SyncID(0)
	;; [unrolled: 1-line block ×4, first 2 shown]
	s_nop 10
	flat_store_dwordx4 v[20:21], a[16:19] offset:32
	s_waitcnt vmcnt(0) lgkmcnt(0)
	v_mfma_f32_16x16x128_f8f6f4 a[20:23], a[0:7], v[80:87], a[20:23]
	flat_load_dwordx4 a[24:27], v[20:21] offset:64
	; sched_group_barrier mask(0x00000008) size(1) SyncID(0)
	; sched_group_barrier mask(0x00000020) size(1) SyncID(0)
	s_nop 10
	flat_store_dwordx4 v[20:21], a[20:23] offset:48
	s_waitcnt vmcnt(0) lgkmcnt(0)
	v_mfma_f32_16x16x128_f8f6f4 a[24:27], a[0:7], v[96:103], a[24:27]
	flat_load_dwordx4 a[28:31], v[20:21] offset:80
	; sched_group_barrier mask(0x00000008) size(1) SyncID(0)
	; sched_group_barrier mask(0x00000020) size(1) SyncID(0)
	;; [unrolled: 7-line block ×4, first 2 shown]
	s_nop 10
	flat_store_dwordx4 v[20:21], a[32:35] offset:96
	s_waitcnt vmcnt(0) lgkmcnt(0)
	v_mfma_f32_16x16x128_f8f6f4 a[0:3], a[0:7], v[24:31], a[36:39]
	; sched_group_barrier mask(0x00000008) size(1) SyncID(0)
	; sched_group_barrier mask(0x00000100) size(1) SyncID(0)
	;; [unrolled: 1-line block ×3, first 2 shown]
	s_nop 11
	flat_store_dwordx4 v[20:21], a[0:3] offset:112
	flat_load_dwordx2 v[2:3], v[0:1] offset:1148
	flat_load_dwordx2 v[6:7], v[0:1] offset:1164
	flat_load_dwordx4 v[10:13], v[0:1] offset:1176
	flat_load_dwordx3 v[14:16], v[0:1] offset:1132
	flat_load_dwordx2 v[18:19], v[8:9]
	; sched_group_barrier mask(0x00000020) size(1) SyncID(0)
	s_waitcnt vmcnt(0) lgkmcnt(0)
	v_sub_u32_e32 v2, v2, v7
	v_sub_u32_e32 v7, v3, v6
	v_add_u32_e32 v13, 16, v13
	v_add_u32_e32 v6, v6, v10
	v_add3_u32 v2, v2, v11, 32
	v_ashrrev_i32_e32 v10, 31, v13
	v_sub_u32_e32 v3, v3, v6
	v_ashrrev_i32_e32 v6, 31, v2
	v_lshrrev_b32_e32 v10, 28, v10
	v_lshrrev_b32_e32 v6, 29, v6
	v_sub_u32_e32 v11, v2, v16
	v_add_u32_e32 v10, v13, v10
	v_add_u32_e32 v6, v2, v6
	v_lshl_add_u32 v11, v11, 7, v14
	v_lshrrev_b32_e32 v14, 4, v10
	v_and_b32_e32 v6, -8, v6
	v_add_u32_e32 v3, v3, v14
	v_sub_u32_e32 v2, v2, v6
	v_xor_b32_e32 v6, v2, v7
	v_xor_b32_e32 v2, v3, v2
	v_and_b32_e32 v10, -16, v10
	v_sub_u32_e32 v3, v6, v15
	v_sub_u32_e32 v6, v2, v15
	;; [unrolled: 1-line block ×4, first 2 shown]
	v_lshl_add_u32 v2, v3, 4, v11
	v_lshlrev_b32_e32 v6, 4, v6
	v_ashrrev_i32_e32 v3, 31, v2
	v_add3_u32 v6, v12, v10, v6
	v_lshl_add_u64 v[2:3], v[18:19], 0, v[2:3]
	v_ashrrev_i32_e32 v7, 31, v6
	flat_load_dwordx4 v[128:131], v[2:3]
	v_lshl_add_u64 v[2:3], v[18:19], 0, v[6:7]
	flat_load_dwordx4 v[132:135], v[2:3]
	v_mov_b32_e32 v2, v196
	;;#ASMSTART
	v_cvt_off_f32_i4 v3, v2
v_cvt_off_f32_i4 v6, v2, src0_sel:BYTE_2
v_cvt_pk_fp8_f32 v10, v3, v6
v_cvt_off_f32_i4 v3, v2, src0_sel:BYTE_1
v_cvt_off_f32_i4 v6, v2, src0_sel:BYTE_3
v_cvt_pk_fp8_f32 v11, v3, v6
v_lshrrev_b32 v7, 4, v2
v_cvt_off_f32_i4 v3, v7
v_cvt_off_f32_i4 v6, v7, src0_sel:BYTE_2
v_cvt_pk_fp8_f32 v10, v3, v6, op_sel:[0, 0, 1]
v_cvt_off_f32_i4 v3, v7, src0_sel:BYTE_1
v_cvt_off_f32_i4 v6, v7, src0_sel:BYTE_3
v_cvt_pk_fp8_f32 v11, v3, v6, op_sel:[0, 0, 1]

	;;#ASMEND
	s_nop 0
	v_mov_b32_e32 v2, v197
	;;#ASMSTART
	v_cvt_off_f32_i4 v3, v2
v_cvt_off_f32_i4 v6, v2, src0_sel:BYTE_2
v_cvt_pk_fp8_f32 v12, v3, v6
v_cvt_off_f32_i4 v3, v2, src0_sel:BYTE_1
v_cvt_off_f32_i4 v6, v2, src0_sel:BYTE_3
v_cvt_pk_fp8_f32 v13, v3, v6
v_lshrrev_b32 v7, 4, v2
v_cvt_off_f32_i4 v3, v7
v_cvt_off_f32_i4 v6, v7, src0_sel:BYTE_2
v_cvt_pk_fp8_f32 v12, v3, v6, op_sel:[0, 0, 1]
v_cvt_off_f32_i4 v3, v7, src0_sel:BYTE_1
v_cvt_off_f32_i4 v6, v7, src0_sel:BYTE_3
v_cvt_pk_fp8_f32 v13, v3, v6, op_sel:[0, 0, 1]

	;;#ASMEND
	s_nop 0
	;; [unrolled: 18-line block ×31, first 2 shown]
	v_mov_b32_e32 v2, v89
	;;#ASMSTART
	v_cvt_off_f32_i4 v3, v2
v_cvt_off_f32_i4 v6, v2, src0_sel:BYTE_2
v_cvt_pk_fp8_f32 v118, v3, v6
v_cvt_off_f32_i4 v3, v2, src0_sel:BYTE_1
v_cvt_off_f32_i4 v6, v2, src0_sel:BYTE_3
v_cvt_pk_fp8_f32 v119, v3, v6
v_lshrrev_b32 v7, 4, v2
v_cvt_off_f32_i4 v3, v7
v_cvt_off_f32_i4 v6, v7, src0_sel:BYTE_2
v_cvt_pk_fp8_f32 v118, v3, v6, op_sel:[0, 0, 1]
v_cvt_off_f32_i4 v3, v7, src0_sel:BYTE_1
v_cvt_off_f32_i4 v6, v7, src0_sel:BYTE_3
v_cvt_pk_fp8_f32 v119, v3, v6, op_sel:[0, 0, 1]

	;;#ASMEND
	; sched_barrier mask(0x00000000)
	flat_load_dwordx4 a[0:3], v[20:21] offset:128
	flat_load_dwordx4 a[4:7], v[20:21] offset:144
	;; [unrolled: 1-line block ×8, first 2 shown]
	; sched_group_barrier mask(0x00000008) size(0) SyncID(0)
	; sched_group_barrier mask(0x00000200) size(1) SyncID(0)
	s_waitcnt vmcnt(0) lgkmcnt(0)
	v_mfma_f32_16x16x128_f8f6f4 a[0:3], v[128:135], v[10:17], a[0:3]
	; sched_group_barrier mask(0x00000008) size(1) SyncID(0)
	; sched_group_barrier mask(0x00000100) size(1) SyncID(0)
	;; [unrolled: 1-line block ×4, first 2 shown]
	s_nop 11
	flat_store_dwordx4 v[20:21], a[0:3] offset:128
	v_mfma_f32_16x16x128_f8f6f4 a[4:7], v[128:135], v[24:31], a[4:7]
	; sched_group_barrier mask(0x00000008) size(1) SyncID(0)
	; sched_group_barrier mask(0x00000100) size(1) SyncID(0)
	v_mfma_f32_16x16x128_f8f6f4 a[8:11], v[128:135], v[32:39], a[8:11]
	; sched_group_barrier mask(0x00000008) size(1) SyncID(0)
	; sched_group_barrier mask(0x00000200) size(1) SyncID(0)
	s_nop 10
	flat_store_dwordx4 v[20:21], a[4:7] offset:144
	v_mfma_f32_16x16x128_f8f6f4 a[12:15], v[128:135], v[48:55], a[12:15]
	; sched_group_barrier mask(0x00000008) size(1) SyncID(0)
	; sched_group_barrier mask(0x00000200) size(1) SyncID(0)
	flat_store_dwordx4 v[20:21], a[8:11] offset:160
	v_mfma_f32_16x16x128_f8f6f4 a[16:19], v[128:135], v[64:71], a[16:19]
	; sched_group_barrier mask(0x00000008) size(1) SyncID(0)
	; sched_group_barrier mask(0x00000200) size(1) SyncID(0)
	s_nop 9
	flat_store_dwordx4 v[20:21], a[12:15] offset:176
	v_mfma_f32_16x16x128_f8f6f4 a[20:23], v[128:135], v[80:87], a[20:23]
	; sched_group_barrier mask(0x00000008) size(1) SyncID(0)
	; sched_group_barrier mask(0x00000200) size(1) SyncID(0)
	flat_store_dwordx4 v[20:21], a[16:19] offset:192
	;; [unrolled: 9-line block ×3, first 2 shown]
	s_nop 10
	flat_store_dwordx4 v[20:21], a[28:31] offset:240
	flat_load_dwordx2 v[2:3], v[0:1] offset:1148
	flat_load_dwordx2 v[6:7], v[0:1] offset:1164
	flat_load_dwordx4 v[10:13], v[0:1] offset:1176
	flat_load_dwordx3 v[14:16], v[0:1] offset:1132
	flat_load_dwordx2 v[18:19], v[8:9]
	s_waitcnt vmcnt(0) lgkmcnt(0)
	v_sub_u32_e32 v2, v2, v7
	v_sub_u32_e32 v7, v3, v6
	v_add_u32_e32 v13, 16, v13
	v_add_u32_e32 v6, v6, v10
	v_add3_u32 v2, v2, v11, 64
	v_ashrrev_i32_e32 v10, 31, v13
	v_sub_u32_e32 v3, v3, v6
	v_ashrrev_i32_e32 v6, 31, v2
	v_lshrrev_b32_e32 v10, 28, v10
	v_lshrrev_b32_e32 v6, 29, v6
	v_sub_u32_e32 v11, v2, v16
	v_add_u32_e32 v10, v13, v10
	v_add_u32_e32 v6, v2, v6
	v_lshl_add_u32 v11, v11, 7, v14
	v_lshrrev_b32_e32 v14, 4, v10
	v_and_b32_e32 v6, -8, v6
	v_add_u32_e32 v3, v3, v14
	v_sub_u32_e32 v2, v2, v6
	v_xor_b32_e32 v6, v2, v7
	v_xor_b32_e32 v2, v3, v2
	v_and_b32_e32 v10, -16, v10
	v_sub_u32_e32 v3, v6, v15
	v_sub_u32_e32 v6, v2, v15
	;; [unrolled: 1-line block ×4, first 2 shown]
	v_lshl_add_u32 v2, v3, 4, v11
	v_lshlrev_b32_e32 v6, 4, v6
	v_ashrrev_i32_e32 v3, 31, v2
	v_add3_u32 v6, v12, v10, v6
	v_lshl_add_u64 v[2:3], v[18:19], 0, v[2:3]
	v_ashrrev_i32_e32 v7, 31, v6
	flat_load_dwordx4 v[128:131], v[2:3]
	v_lshl_add_u64 v[2:3], v[18:19], 0, v[6:7]
	flat_load_dwordx4 v[132:135], v[2:3]
	v_mov_b32_e32 v2, v196
	;;#ASMSTART
	v_cvt_off_f32_i4 v3, v2
v_cvt_off_f32_i4 v6, v2, src0_sel:BYTE_2
v_cvt_pk_fp8_f32 v10, v3, v6
v_cvt_off_f32_i4 v3, v2, src0_sel:BYTE_1
v_cvt_off_f32_i4 v6, v2, src0_sel:BYTE_3
v_cvt_pk_fp8_f32 v11, v3, v6
v_lshrrev_b32 v7, 4, v2
v_cvt_off_f32_i4 v3, v7
v_cvt_off_f32_i4 v6, v7, src0_sel:BYTE_2
v_cvt_pk_fp8_f32 v10, v3, v6, op_sel:[0, 0, 1]
v_cvt_off_f32_i4 v3, v7, src0_sel:BYTE_1
v_cvt_off_f32_i4 v6, v7, src0_sel:BYTE_3
v_cvt_pk_fp8_f32 v11, v3, v6, op_sel:[0, 0, 1]

	;;#ASMEND
	s_nop 0
	v_mov_b32_e32 v2, v197
	;;#ASMSTART
	v_cvt_off_f32_i4 v3, v2
v_cvt_off_f32_i4 v6, v2, src0_sel:BYTE_2
v_cvt_pk_fp8_f32 v12, v3, v6
v_cvt_off_f32_i4 v3, v2, src0_sel:BYTE_1
v_cvt_off_f32_i4 v6, v2, src0_sel:BYTE_3
v_cvt_pk_fp8_f32 v13, v3, v6
v_lshrrev_b32 v7, 4, v2
v_cvt_off_f32_i4 v3, v7
v_cvt_off_f32_i4 v6, v7, src0_sel:BYTE_2
v_cvt_pk_fp8_f32 v12, v3, v6, op_sel:[0, 0, 1]
v_cvt_off_f32_i4 v3, v7, src0_sel:BYTE_1
v_cvt_off_f32_i4 v6, v7, src0_sel:BYTE_3
v_cvt_pk_fp8_f32 v13, v3, v6, op_sel:[0, 0, 1]

	;;#ASMEND
	s_nop 0
	;; [unrolled: 18-line block ×31, first 2 shown]
	v_mov_b32_e32 v2, v89
	;;#ASMSTART
	v_cvt_off_f32_i4 v3, v2
v_cvt_off_f32_i4 v6, v2, src0_sel:BYTE_2
v_cvt_pk_fp8_f32 v118, v3, v6
v_cvt_off_f32_i4 v3, v2, src0_sel:BYTE_1
v_cvt_off_f32_i4 v6, v2, src0_sel:BYTE_3
v_cvt_pk_fp8_f32 v119, v3, v6
v_lshrrev_b32 v7, 4, v2
v_cvt_off_f32_i4 v3, v7
v_cvt_off_f32_i4 v6, v7, src0_sel:BYTE_2
v_cvt_pk_fp8_f32 v118, v3, v6, op_sel:[0, 0, 1]
v_cvt_off_f32_i4 v3, v7, src0_sel:BYTE_1
v_cvt_off_f32_i4 v6, v7, src0_sel:BYTE_3
v_cvt_pk_fp8_f32 v119, v3, v6, op_sel:[0, 0, 1]

	;;#ASMEND
	; sched_barrier mask(0x00000000)
	flat_load_dwordx4 a[0:3], v[20:21] offset:256
	flat_load_dwordx4 a[4:7], v[20:21] offset:272
	;; [unrolled: 1-line block ×8, first 2 shown]
	s_movk_i32 s12, 0x60
	s_waitcnt vmcnt(0) lgkmcnt(0)
	v_mfma_f32_16x16x128_f8f6f4 a[0:3], v[128:135], v[10:17], a[0:3]
	s_nop 11
	flat_store_dwordx4 v[20:21], a[0:3] offset:256
	v_mfma_f32_16x16x128_f8f6f4 a[4:7], v[128:135], v[24:31], a[4:7]
	v_mfma_f32_16x16x128_f8f6f4 a[8:11], v[128:135], v[32:39], a[8:11]
	s_nop 10
	flat_store_dwordx4 v[20:21], a[4:7] offset:272
	v_mfma_f32_16x16x128_f8f6f4 a[12:15], v[128:135], v[48:55], a[12:15]
	; sched_group_barrier mask(0x00000008) size(4) SyncID(0)
	; sched_group_barrier mask(0x00000100) size(1) SyncID(0)
	flat_store_dwordx4 v[20:21], a[8:11] offset:288
	v_mfma_f32_16x16x128_f8f6f4 a[16:19], v[128:135], v[64:71], a[16:19]
	s_nop 9
	flat_store_dwordx4 v[20:21], a[12:15] offset:304
	v_mfma_f32_16x16x128_f8f6f4 a[20:23], v[128:135], v[80:87], a[20:23]
	flat_store_dwordx4 v[20:21], a[16:19] offset:320
	v_mfma_f32_16x16x128_f8f6f4 a[24:27], v[128:135], v[96:103], a[24:27]
	s_nop 9
	flat_store_dwordx4 v[20:21], a[20:23] offset:336
	v_mfma_f32_16x16x128_f8f6f4 a[28:31], v[128:135], v[112:119], a[28:31]
	; sched_group_barrier mask(0x00000008) size(4) SyncID(0)
	; sched_group_barrier mask(0x00000100) size(1) SyncID(0)
	flat_store_dwordx4 v[20:21], a[24:27] offset:352
	s_nop 10
	flat_store_dwordx4 v[20:21], a[28:31] offset:368
	flat_load_dwordx2 v[2:3], v[0:1] offset:1148
	flat_load_dwordx2 v[6:7], v[0:1] offset:1164
	flat_load_dwordx4 v[10:13], v[0:1] offset:1176
	flat_load_dwordx3 v[14:16], v[0:1] offset:1132
	flat_load_dwordx2 v[18:19], v[8:9]
	s_waitcnt vmcnt(0) lgkmcnt(0)
	v_sub_u32_e32 v2, v2, v7
	v_sub_u32_e32 v7, v3, v6
	v_add_u32_e32 v13, 16, v13
	v_add_u32_e32 v6, v6, v10
	v_add3_u32 v2, v2, v11, s12
	v_ashrrev_i32_e32 v10, 31, v13
	v_sub_u32_e32 v3, v3, v6
	v_ashrrev_i32_e32 v6, 31, v2
	v_lshrrev_b32_e32 v10, 28, v10
	v_lshrrev_b32_e32 v6, 29, v6
	v_sub_u32_e32 v11, v2, v16
	v_add_u32_e32 v10, v13, v10
	v_add_u32_e32 v6, v2, v6
	v_lshl_add_u32 v11, v11, 7, v14
	v_lshrrev_b32_e32 v14, 4, v10
	v_and_b32_e32 v6, -8, v6
	v_add_u32_e32 v3, v3, v14
	v_sub_u32_e32 v2, v2, v6
	v_xor_b32_e32 v6, v2, v7
	v_xor_b32_e32 v2, v3, v2
	v_and_b32_e32 v10, -16, v10
	v_sub_u32_e32 v3, v6, v15
	v_sub_u32_e32 v6, v2, v15
	;; [unrolled: 1-line block ×4, first 2 shown]
	v_lshl_add_u32 v2, v3, 4, v11
	v_lshlrev_b32_e32 v6, 4, v6
	v_ashrrev_i32_e32 v3, 31, v2
	v_add3_u32 v6, v12, v10, v6
	v_lshl_add_u64 v[2:3], v[18:19], 0, v[2:3]
	v_ashrrev_i32_e32 v7, 31, v6
	flat_load_dwordx4 v[128:131], v[2:3]
	v_lshl_add_u64 v[2:3], v[18:19], 0, v[6:7]
	flat_load_dwordx4 v[132:135], v[2:3]
	v_mov_b32_e32 v2, v196
	;;#ASMSTART
	v_cvt_off_f32_i4 v3, v2
v_cvt_off_f32_i4 v6, v2, src0_sel:BYTE_2
v_cvt_pk_fp8_f32 v10, v3, v6
v_cvt_off_f32_i4 v3, v2, src0_sel:BYTE_1
v_cvt_off_f32_i4 v6, v2, src0_sel:BYTE_3
v_cvt_pk_fp8_f32 v11, v3, v6
v_lshrrev_b32 v7, 4, v2
v_cvt_off_f32_i4 v3, v7
v_cvt_off_f32_i4 v6, v7, src0_sel:BYTE_2
v_cvt_pk_fp8_f32 v10, v3, v6, op_sel:[0, 0, 1]
v_cvt_off_f32_i4 v3, v7, src0_sel:BYTE_1
v_cvt_off_f32_i4 v6, v7, src0_sel:BYTE_3
v_cvt_pk_fp8_f32 v11, v3, v6, op_sel:[0, 0, 1]

	;;#ASMEND
	s_nop 0
	v_mov_b32_e32 v2, v197
	;;#ASMSTART
	v_cvt_off_f32_i4 v3, v2
v_cvt_off_f32_i4 v6, v2, src0_sel:BYTE_2
v_cvt_pk_fp8_f32 v12, v3, v6
v_cvt_off_f32_i4 v3, v2, src0_sel:BYTE_1
v_cvt_off_f32_i4 v6, v2, src0_sel:BYTE_3
v_cvt_pk_fp8_f32 v13, v3, v6
v_lshrrev_b32 v7, 4, v2
v_cvt_off_f32_i4 v3, v7
v_cvt_off_f32_i4 v6, v7, src0_sel:BYTE_2
v_cvt_pk_fp8_f32 v12, v3, v6, op_sel:[0, 0, 1]
v_cvt_off_f32_i4 v3, v7, src0_sel:BYTE_1
v_cvt_off_f32_i4 v6, v7, src0_sel:BYTE_3
v_cvt_pk_fp8_f32 v13, v3, v6, op_sel:[0, 0, 1]

	;;#ASMEND
	s_nop 0
	;; [unrolled: 18-line block ×31, first 2 shown]
	v_mov_b32_e32 v2, v89
	;;#ASMSTART
	v_cvt_off_f32_i4 v3, v2
v_cvt_off_f32_i4 v6, v2, src0_sel:BYTE_2
v_cvt_pk_fp8_f32 v118, v3, v6
v_cvt_off_f32_i4 v3, v2, src0_sel:BYTE_1
v_cvt_off_f32_i4 v6, v2, src0_sel:BYTE_3
v_cvt_pk_fp8_f32 v119, v3, v6
v_lshrrev_b32 v7, 4, v2
v_cvt_off_f32_i4 v3, v7
v_cvt_off_f32_i4 v6, v7, src0_sel:BYTE_2
v_cvt_pk_fp8_f32 v118, v3, v6, op_sel:[0, 0, 1]
v_cvt_off_f32_i4 v3, v7, src0_sel:BYTE_1
v_cvt_off_f32_i4 v6, v7, src0_sel:BYTE_3
v_cvt_pk_fp8_f32 v119, v3, v6, op_sel:[0, 0, 1]

	;;#ASMEND
	; sched_barrier mask(0x00000000)
	flat_load_dwordx4 a[0:3], v[20:21] offset:384
	flat_load_dwordx4 a[4:7], v[20:21] offset:400
	;; [unrolled: 1-line block ×8, first 2 shown]
	s_movk_i32 s13, 0x80
	s_waitcnt vmcnt(0) lgkmcnt(0)
	v_mfma_f32_16x16x128_f8f6f4 a[0:3], v[128:135], v[10:17], a[0:3]
	s_nop 11
	flat_store_dwordx4 v[20:21], a[0:3] offset:384
	v_mfma_f32_16x16x128_f8f6f4 a[4:7], v[128:135], v[24:31], a[4:7]
	v_mfma_f32_16x16x128_f8f6f4 a[8:11], v[128:135], v[32:39], a[8:11]
	s_nop 10
	flat_store_dwordx4 v[20:21], a[4:7] offset:400
	v_mfma_f32_16x16x128_f8f6f4 a[12:15], v[128:135], v[48:55], a[12:15]
	; sched_group_barrier mask(0x00000008) size(4) SyncID(0)
	; sched_group_barrier mask(0x00000100) size(1) SyncID(0)
	flat_store_dwordx4 v[20:21], a[8:11] offset:416
	v_mfma_f32_16x16x128_f8f6f4 a[16:19], v[128:135], v[64:71], a[16:19]
	s_nop 9
	flat_store_dwordx4 v[20:21], a[12:15] offset:432
	v_mfma_f32_16x16x128_f8f6f4 a[20:23], v[128:135], v[80:87], a[20:23]
	flat_store_dwordx4 v[20:21], a[16:19] offset:448
	v_mfma_f32_16x16x128_f8f6f4 a[24:27], v[128:135], v[96:103], a[24:27]
	s_nop 9
	flat_store_dwordx4 v[20:21], a[20:23] offset:464
	v_mfma_f32_16x16x128_f8f6f4 a[28:31], v[128:135], v[112:119], a[28:31]
	; sched_group_barrier mask(0x00000008) size(4) SyncID(0)
	; sched_group_barrier mask(0x00000100) size(1) SyncID(0)
	flat_store_dwordx4 v[20:21], a[24:27] offset:480
	s_nop 10
	flat_store_dwordx4 v[20:21], a[28:31] offset:496
	flat_load_dwordx2 v[2:3], v[0:1] offset:1148
	flat_load_dwordx2 v[6:7], v[0:1] offset:1164
	flat_load_dwordx4 v[10:13], v[0:1] offset:1176
	flat_load_dwordx3 v[14:16], v[0:1] offset:1132
	flat_load_dwordx2 v[18:19], v[8:9]
	s_waitcnt vmcnt(0) lgkmcnt(0)
	v_sub_u32_e32 v2, v2, v7
	v_sub_u32_e32 v7, v3, v6
	v_add_u32_e32 v13, 16, v13
	v_add_u32_e32 v6, v6, v10
	v_add3_u32 v2, v2, v11, s13
	v_ashrrev_i32_e32 v10, 31, v13
	v_sub_u32_e32 v3, v3, v6
	v_ashrrev_i32_e32 v6, 31, v2
	v_lshrrev_b32_e32 v10, 28, v10
	v_lshrrev_b32_e32 v6, 29, v6
	v_sub_u32_e32 v11, v2, v16
	v_add_u32_e32 v10, v13, v10
	v_add_u32_e32 v6, v2, v6
	v_lshl_add_u32 v11, v11, 7, v14
	v_lshrrev_b32_e32 v14, 4, v10
	v_and_b32_e32 v6, -8, v6
	v_add_u32_e32 v3, v3, v14
	v_sub_u32_e32 v2, v2, v6
	v_xor_b32_e32 v6, v2, v7
	v_xor_b32_e32 v2, v3, v2
	v_and_b32_e32 v10, -16, v10
	v_sub_u32_e32 v3, v6, v15
	v_sub_u32_e32 v6, v2, v15
	;; [unrolled: 1-line block ×4, first 2 shown]
	v_lshl_add_u32 v2, v3, 4, v11
	v_lshlrev_b32_e32 v6, 4, v6
	v_ashrrev_i32_e32 v3, 31, v2
	v_add3_u32 v6, v12, v10, v6
	v_lshl_add_u64 v[2:3], v[18:19], 0, v[2:3]
	v_ashrrev_i32_e32 v7, 31, v6
	flat_load_dwordx4 v[128:131], v[2:3]
	v_lshl_add_u64 v[2:3], v[18:19], 0, v[6:7]
	flat_load_dwordx4 v[132:135], v[2:3]
	v_mov_b32_e32 v2, v196
	;;#ASMSTART
	v_cvt_off_f32_i4 v3, v2
v_cvt_off_f32_i4 v6, v2, src0_sel:BYTE_2
v_cvt_pk_fp8_f32 v10, v3, v6
v_cvt_off_f32_i4 v3, v2, src0_sel:BYTE_1
v_cvt_off_f32_i4 v6, v2, src0_sel:BYTE_3
v_cvt_pk_fp8_f32 v11, v3, v6
v_lshrrev_b32 v7, 4, v2
v_cvt_off_f32_i4 v3, v7
v_cvt_off_f32_i4 v6, v7, src0_sel:BYTE_2
v_cvt_pk_fp8_f32 v10, v3, v6, op_sel:[0, 0, 1]
v_cvt_off_f32_i4 v3, v7, src0_sel:BYTE_1
v_cvt_off_f32_i4 v6, v7, src0_sel:BYTE_3
v_cvt_pk_fp8_f32 v11, v3, v6, op_sel:[0, 0, 1]

	;;#ASMEND
	s_nop 0
	v_mov_b32_e32 v2, v197
	;;#ASMSTART
	v_cvt_off_f32_i4 v3, v2
v_cvt_off_f32_i4 v6, v2, src0_sel:BYTE_2
v_cvt_pk_fp8_f32 v12, v3, v6
v_cvt_off_f32_i4 v3, v2, src0_sel:BYTE_1
v_cvt_off_f32_i4 v6, v2, src0_sel:BYTE_3
v_cvt_pk_fp8_f32 v13, v3, v6
v_lshrrev_b32 v7, 4, v2
v_cvt_off_f32_i4 v3, v7
v_cvt_off_f32_i4 v6, v7, src0_sel:BYTE_2
v_cvt_pk_fp8_f32 v12, v3, v6, op_sel:[0, 0, 1]
v_cvt_off_f32_i4 v3, v7, src0_sel:BYTE_1
v_cvt_off_f32_i4 v6, v7, src0_sel:BYTE_3
v_cvt_pk_fp8_f32 v13, v3, v6, op_sel:[0, 0, 1]

	;;#ASMEND
	s_nop 0
	;; [unrolled: 18-line block ×31, first 2 shown]
	v_mov_b32_e32 v2, v89
	;;#ASMSTART
	v_cvt_off_f32_i4 v3, v2
v_cvt_off_f32_i4 v6, v2, src0_sel:BYTE_2
v_cvt_pk_fp8_f32 v118, v3, v6
v_cvt_off_f32_i4 v3, v2, src0_sel:BYTE_1
v_cvt_off_f32_i4 v6, v2, src0_sel:BYTE_3
v_cvt_pk_fp8_f32 v119, v3, v6
v_lshrrev_b32 v7, 4, v2
v_cvt_off_f32_i4 v3, v7
v_cvt_off_f32_i4 v6, v7, src0_sel:BYTE_2
v_cvt_pk_fp8_f32 v118, v3, v6, op_sel:[0, 0, 1]
v_cvt_off_f32_i4 v3, v7, src0_sel:BYTE_1
v_cvt_off_f32_i4 v6, v7, src0_sel:BYTE_3
v_cvt_pk_fp8_f32 v119, v3, v6, op_sel:[0, 0, 1]

	;;#ASMEND
	; sched_barrier mask(0x00000000)
	flat_load_dwordx4 a[0:3], v[20:21] offset:512
	flat_load_dwordx4 a[4:7], v[20:21] offset:528
	;; [unrolled: 1-line block ×8, first 2 shown]
	s_movk_i32 s14, 0xa0
	s_waitcnt vmcnt(0) lgkmcnt(0)
	v_mfma_f32_16x16x128_f8f6f4 a[0:3], v[128:135], v[10:17], a[0:3]
	s_nop 11
	flat_store_dwordx4 v[20:21], a[0:3] offset:512
	v_mfma_f32_16x16x128_f8f6f4 a[4:7], v[128:135], v[24:31], a[4:7]
	v_mfma_f32_16x16x128_f8f6f4 a[8:11], v[128:135], v[32:39], a[8:11]
	s_nop 10
	flat_store_dwordx4 v[20:21], a[4:7] offset:528
	v_mfma_f32_16x16x128_f8f6f4 a[12:15], v[128:135], v[48:55], a[12:15]
	; sched_group_barrier mask(0x00000008) size(4) SyncID(0)
	; sched_group_barrier mask(0x00000100) size(1) SyncID(0)
	flat_store_dwordx4 v[20:21], a[8:11] offset:544
	v_mfma_f32_16x16x128_f8f6f4 a[16:19], v[128:135], v[64:71], a[16:19]
	s_nop 9
	flat_store_dwordx4 v[20:21], a[12:15] offset:560
	v_mfma_f32_16x16x128_f8f6f4 a[20:23], v[128:135], v[80:87], a[20:23]
	flat_store_dwordx4 v[20:21], a[16:19] offset:576
	v_mfma_f32_16x16x128_f8f6f4 a[24:27], v[128:135], v[96:103], a[24:27]
	s_nop 9
	flat_store_dwordx4 v[20:21], a[20:23] offset:592
	v_mfma_f32_16x16x128_f8f6f4 a[28:31], v[128:135], v[112:119], a[28:31]
	; sched_group_barrier mask(0x00000008) size(4) SyncID(0)
	; sched_group_barrier mask(0x00000100) size(1) SyncID(0)
	flat_store_dwordx4 v[20:21], a[24:27] offset:608
	s_nop 10
	flat_store_dwordx4 v[20:21], a[28:31] offset:624
	flat_load_dwordx2 v[2:3], v[0:1] offset:1148
	flat_load_dwordx2 v[6:7], v[0:1] offset:1164
	flat_load_dwordx4 v[10:13], v[0:1] offset:1176
	flat_load_dwordx3 v[14:16], v[0:1] offset:1132
	flat_load_dwordx2 v[18:19], v[8:9]
	s_waitcnt vmcnt(0) lgkmcnt(0)
	v_sub_u32_e32 v2, v2, v7
	v_sub_u32_e32 v7, v3, v6
	v_add_u32_e32 v13, 16, v13
	v_add_u32_e32 v6, v6, v10
	v_add3_u32 v2, v2, v11, s14
	v_ashrrev_i32_e32 v10, 31, v13
	v_sub_u32_e32 v3, v3, v6
	v_ashrrev_i32_e32 v6, 31, v2
	v_lshrrev_b32_e32 v10, 28, v10
	v_lshrrev_b32_e32 v6, 29, v6
	v_sub_u32_e32 v11, v2, v16
	v_add_u32_e32 v10, v13, v10
	v_add_u32_e32 v6, v2, v6
	v_lshl_add_u32 v11, v11, 7, v14
	v_lshrrev_b32_e32 v14, 4, v10
	v_and_b32_e32 v6, -8, v6
	v_add_u32_e32 v3, v3, v14
	v_sub_u32_e32 v2, v2, v6
	v_xor_b32_e32 v6, v2, v7
	v_xor_b32_e32 v2, v3, v2
	v_and_b32_e32 v10, -16, v10
	v_sub_u32_e32 v3, v6, v15
	v_sub_u32_e32 v6, v2, v15
	;; [unrolled: 1-line block ×4, first 2 shown]
	v_lshl_add_u32 v2, v3, 4, v11
	v_lshlrev_b32_e32 v6, 4, v6
	v_ashrrev_i32_e32 v3, 31, v2
	v_add3_u32 v6, v12, v10, v6
	v_lshl_add_u64 v[2:3], v[18:19], 0, v[2:3]
	v_ashrrev_i32_e32 v7, 31, v6
	flat_load_dwordx4 v[128:131], v[2:3]
	v_lshl_add_u64 v[2:3], v[18:19], 0, v[6:7]
	flat_load_dwordx4 v[132:135], v[2:3]
	v_mov_b32_e32 v2, v196
	;;#ASMSTART
	v_cvt_off_f32_i4 v3, v2
v_cvt_off_f32_i4 v6, v2, src0_sel:BYTE_2
v_cvt_pk_fp8_f32 v10, v3, v6
v_cvt_off_f32_i4 v3, v2, src0_sel:BYTE_1
v_cvt_off_f32_i4 v6, v2, src0_sel:BYTE_3
v_cvt_pk_fp8_f32 v11, v3, v6
v_lshrrev_b32 v7, 4, v2
v_cvt_off_f32_i4 v3, v7
v_cvt_off_f32_i4 v6, v7, src0_sel:BYTE_2
v_cvt_pk_fp8_f32 v10, v3, v6, op_sel:[0, 0, 1]
v_cvt_off_f32_i4 v3, v7, src0_sel:BYTE_1
v_cvt_off_f32_i4 v6, v7, src0_sel:BYTE_3
v_cvt_pk_fp8_f32 v11, v3, v6, op_sel:[0, 0, 1]

	;;#ASMEND
	s_nop 0
	v_mov_b32_e32 v2, v197
	;;#ASMSTART
	v_cvt_off_f32_i4 v3, v2
v_cvt_off_f32_i4 v6, v2, src0_sel:BYTE_2
v_cvt_pk_fp8_f32 v12, v3, v6
v_cvt_off_f32_i4 v3, v2, src0_sel:BYTE_1
v_cvt_off_f32_i4 v6, v2, src0_sel:BYTE_3
v_cvt_pk_fp8_f32 v13, v3, v6
v_lshrrev_b32 v7, 4, v2
v_cvt_off_f32_i4 v3, v7
v_cvt_off_f32_i4 v6, v7, src0_sel:BYTE_2
v_cvt_pk_fp8_f32 v12, v3, v6, op_sel:[0, 0, 1]
v_cvt_off_f32_i4 v3, v7, src0_sel:BYTE_1
v_cvt_off_f32_i4 v6, v7, src0_sel:BYTE_3
v_cvt_pk_fp8_f32 v13, v3, v6, op_sel:[0, 0, 1]

	;;#ASMEND
	s_nop 0
	;; [unrolled: 18-line block ×31, first 2 shown]
	v_mov_b32_e32 v2, v89
	;;#ASMSTART
	v_cvt_off_f32_i4 v3, v2
v_cvt_off_f32_i4 v6, v2, src0_sel:BYTE_2
v_cvt_pk_fp8_f32 v118, v3, v6
v_cvt_off_f32_i4 v3, v2, src0_sel:BYTE_1
v_cvt_off_f32_i4 v6, v2, src0_sel:BYTE_3
v_cvt_pk_fp8_f32 v119, v3, v6
v_lshrrev_b32 v7, 4, v2
v_cvt_off_f32_i4 v3, v7
v_cvt_off_f32_i4 v6, v7, src0_sel:BYTE_2
v_cvt_pk_fp8_f32 v118, v3, v6, op_sel:[0, 0, 1]
v_cvt_off_f32_i4 v3, v7, src0_sel:BYTE_1
v_cvt_off_f32_i4 v6, v7, src0_sel:BYTE_3
v_cvt_pk_fp8_f32 v119, v3, v6, op_sel:[0, 0, 1]

	;;#ASMEND
	; sched_barrier mask(0x00000000)
	flat_load_dwordx4 a[0:3], v[20:21] offset:640
	flat_load_dwordx4 a[4:7], v[20:21] offset:656
	;; [unrolled: 1-line block ×8, first 2 shown]
	s_movk_i32 s15, 0xc0
	s_waitcnt vmcnt(0) lgkmcnt(0)
	v_mfma_f32_16x16x128_f8f6f4 a[0:3], v[128:135], v[10:17], a[0:3]
	s_nop 11
	flat_store_dwordx4 v[20:21], a[0:3] offset:640
	v_mfma_f32_16x16x128_f8f6f4 a[4:7], v[128:135], v[24:31], a[4:7]
	v_mfma_f32_16x16x128_f8f6f4 a[8:11], v[128:135], v[32:39], a[8:11]
	s_nop 10
	flat_store_dwordx4 v[20:21], a[4:7] offset:656
	v_mfma_f32_16x16x128_f8f6f4 a[12:15], v[128:135], v[48:55], a[12:15]
	; sched_group_barrier mask(0x00000008) size(4) SyncID(0)
	; sched_group_barrier mask(0x00000100) size(1) SyncID(0)
	flat_store_dwordx4 v[20:21], a[8:11] offset:672
	v_mfma_f32_16x16x128_f8f6f4 a[16:19], v[128:135], v[64:71], a[16:19]
	s_nop 9
	flat_store_dwordx4 v[20:21], a[12:15] offset:688
	v_mfma_f32_16x16x128_f8f6f4 a[20:23], v[128:135], v[80:87], a[20:23]
	flat_store_dwordx4 v[20:21], a[16:19] offset:704
	v_mfma_f32_16x16x128_f8f6f4 a[24:27], v[128:135], v[96:103], a[24:27]
	s_nop 9
	flat_store_dwordx4 v[20:21], a[20:23] offset:720
	v_mfma_f32_16x16x128_f8f6f4 a[28:31], v[128:135], v[112:119], a[28:31]
	; sched_group_barrier mask(0x00000008) size(4) SyncID(0)
	; sched_group_barrier mask(0x00000100) size(1) SyncID(0)
	flat_store_dwordx4 v[20:21], a[24:27] offset:736
	s_nop 10
	flat_store_dwordx4 v[20:21], a[28:31] offset:752
	flat_load_dwordx2 v[2:3], v[0:1] offset:1148
	flat_load_dwordx2 v[6:7], v[0:1] offset:1164
	flat_load_dwordx4 v[10:13], v[0:1] offset:1176
	flat_load_dwordx3 v[14:16], v[0:1] offset:1132
	flat_load_dwordx2 v[18:19], v[8:9]
	s_waitcnt vmcnt(0) lgkmcnt(0)
	v_sub_u32_e32 v2, v2, v7
	v_sub_u32_e32 v7, v3, v6
	v_add_u32_e32 v13, 16, v13
	v_add_u32_e32 v6, v6, v10
	v_add3_u32 v2, v2, v11, s15
	v_ashrrev_i32_e32 v10, 31, v13
	v_sub_u32_e32 v3, v3, v6
	v_ashrrev_i32_e32 v6, 31, v2
	v_lshrrev_b32_e32 v10, 28, v10
	v_lshrrev_b32_e32 v6, 29, v6
	v_sub_u32_e32 v11, v2, v16
	v_add_u32_e32 v10, v13, v10
	v_add_u32_e32 v6, v2, v6
	v_lshl_add_u32 v11, v11, 7, v14
	v_lshrrev_b32_e32 v14, 4, v10
	v_and_b32_e32 v6, -8, v6
	v_add_u32_e32 v3, v3, v14
	v_sub_u32_e32 v2, v2, v6
	v_xor_b32_e32 v6, v2, v7
	v_xor_b32_e32 v2, v3, v2
	v_and_b32_e32 v10, -16, v10
	v_sub_u32_e32 v3, v6, v15
	v_sub_u32_e32 v6, v2, v15
	;; [unrolled: 1-line block ×4, first 2 shown]
	v_lshl_add_u32 v2, v3, 4, v11
	v_lshlrev_b32_e32 v6, 4, v6
	v_ashrrev_i32_e32 v3, 31, v2
	v_add3_u32 v6, v12, v10, v6
	v_lshl_add_u64 v[2:3], v[18:19], 0, v[2:3]
	v_ashrrev_i32_e32 v7, 31, v6
	flat_load_dwordx4 v[128:131], v[2:3]
	v_lshl_add_u64 v[2:3], v[18:19], 0, v[6:7]
	flat_load_dwordx4 v[132:135], v[2:3]
	v_mov_b32_e32 v2, v196
	;;#ASMSTART
	v_cvt_off_f32_i4 v3, v2
v_cvt_off_f32_i4 v6, v2, src0_sel:BYTE_2
v_cvt_pk_fp8_f32 v10, v3, v6
v_cvt_off_f32_i4 v3, v2, src0_sel:BYTE_1
v_cvt_off_f32_i4 v6, v2, src0_sel:BYTE_3
v_cvt_pk_fp8_f32 v11, v3, v6
v_lshrrev_b32 v7, 4, v2
v_cvt_off_f32_i4 v3, v7
v_cvt_off_f32_i4 v6, v7, src0_sel:BYTE_2
v_cvt_pk_fp8_f32 v10, v3, v6, op_sel:[0, 0, 1]
v_cvt_off_f32_i4 v3, v7, src0_sel:BYTE_1
v_cvt_off_f32_i4 v6, v7, src0_sel:BYTE_3
v_cvt_pk_fp8_f32 v11, v3, v6, op_sel:[0, 0, 1]

	;;#ASMEND
	s_nop 0
	v_mov_b32_e32 v2, v197
	;;#ASMSTART
	v_cvt_off_f32_i4 v3, v2
v_cvt_off_f32_i4 v6, v2, src0_sel:BYTE_2
v_cvt_pk_fp8_f32 v12, v3, v6
v_cvt_off_f32_i4 v3, v2, src0_sel:BYTE_1
v_cvt_off_f32_i4 v6, v2, src0_sel:BYTE_3
v_cvt_pk_fp8_f32 v13, v3, v6
v_lshrrev_b32 v7, 4, v2
v_cvt_off_f32_i4 v3, v7
v_cvt_off_f32_i4 v6, v7, src0_sel:BYTE_2
v_cvt_pk_fp8_f32 v12, v3, v6, op_sel:[0, 0, 1]
v_cvt_off_f32_i4 v3, v7, src0_sel:BYTE_1
v_cvt_off_f32_i4 v6, v7, src0_sel:BYTE_3
v_cvt_pk_fp8_f32 v13, v3, v6, op_sel:[0, 0, 1]

	;;#ASMEND
	s_nop 0
	v_mov_b32_e32 v2, v198
	;;#ASMSTART
	v_cvt_off_f32_i4 v3, v2
v_cvt_off_f32_i4 v6, v2, src0_sel:BYTE_2
v_cvt_pk_fp8_f32 v14, v3, v6
v_cvt_off_f32_i4 v3, v2, src0_sel:BYTE_1
v_cvt_off_f32_i4 v6, v2, src0_sel:BYTE_3
v_cvt_pk_fp8_f32 v15, v3, v6
v_lshrrev_b32 v7, 4, v2
v_cvt_off_f32_i4 v3, v7
v_cvt_off_f32_i4 v6, v7, src0_sel:BYTE_2
v_cvt_pk_fp8_f32 v14, v3, v6, op_sel:[0, 0, 1]
v_cvt_off_f32_i4 v3, v7, src0_sel:BYTE_1
v_cvt_off_f32_i4 v6, v7, src0_sel:BYTE_3
v_cvt_pk_fp8_f32 v15, v3, v6, op_sel:[0, 0, 1]

	;;#ASMEND
	s_nop 0
	v_mov_b32_e32 v2, v22
	;;#ASMSTART
	v_cvt_off_f32_i4 v3, v2
v_cvt_off_f32_i4 v6, v2, src0_sel:BYTE_2
v_cvt_pk_fp8_f32 v16, v3, v6
v_cvt_off_f32_i4 v3, v2, src0_sel:BYTE_1
v_cvt_off_f32_i4 v6, v2, src0_sel:BYTE_3
v_cvt_pk_fp8_f32 v17, v3, v6
v_lshrrev_b32 v7, 4, v2
v_cvt_off_f32_i4 v3, v7
v_cvt_off_f32_i4 v6, v7, src0_sel:BYTE_2
v_cvt_pk_fp8_f32 v16, v3, v6, op_sel:[0, 0, 1]
v_cvt_off_f32_i4 v3, v7, src0_sel:BYTE_1
v_cvt_off_f32_i4 v6, v7, src0_sel:BYTE_3
v_cvt_pk_fp8_f32 v17, v3, v6, op_sel:[0, 0, 1]

	;;#ASMEND
	s_nop 0
	v_mov_b32_e32 v2, v192
	;;#ASMSTART
	v_cvt_off_f32_i4 v3, v2
v_cvt_off_f32_i4 v6, v2, src0_sel:BYTE_2
v_cvt_pk_fp8_f32 v24, v3, v6
v_cvt_off_f32_i4 v3, v2, src0_sel:BYTE_1
v_cvt_off_f32_i4 v6, v2, src0_sel:BYTE_3
v_cvt_pk_fp8_f32 v25, v3, v6
v_lshrrev_b32 v7, 4, v2
v_cvt_off_f32_i4 v3, v7
v_cvt_off_f32_i4 v6, v7, src0_sel:BYTE_2
v_cvt_pk_fp8_f32 v24, v3, v6, op_sel:[0, 0, 1]
v_cvt_off_f32_i4 v3, v7, src0_sel:BYTE_1
v_cvt_off_f32_i4 v6, v7, src0_sel:BYTE_3
v_cvt_pk_fp8_f32 v25, v3, v6, op_sel:[0, 0, 1]

	;;#ASMEND
	s_nop 0
	v_mov_b32_e32 v2, v193
	;;#ASMSTART
	v_cvt_off_f32_i4 v3, v2
v_cvt_off_f32_i4 v6, v2, src0_sel:BYTE_2
v_cvt_pk_fp8_f32 v26, v3, v6
v_cvt_off_f32_i4 v3, v2, src0_sel:BYTE_1
v_cvt_off_f32_i4 v6, v2, src0_sel:BYTE_3
v_cvt_pk_fp8_f32 v27, v3, v6
v_lshrrev_b32 v7, 4, v2
v_cvt_off_f32_i4 v3, v7
v_cvt_off_f32_i4 v6, v7, src0_sel:BYTE_2
v_cvt_pk_fp8_f32 v26, v3, v6, op_sel:[0, 0, 1]
v_cvt_off_f32_i4 v3, v7, src0_sel:BYTE_1
v_cvt_off_f32_i4 v6, v7, src0_sel:BYTE_3
v_cvt_pk_fp8_f32 v27, v3, v6, op_sel:[0, 0, 1]

	;;#ASMEND
	s_nop 0
	v_mov_b32_e32 v2, v194
	;;#ASMSTART
	v_cvt_off_f32_i4 v3, v2
v_cvt_off_f32_i4 v6, v2, src0_sel:BYTE_2
v_cvt_pk_fp8_f32 v28, v3, v6
v_cvt_off_f32_i4 v3, v2, src0_sel:BYTE_1
v_cvt_off_f32_i4 v6, v2, src0_sel:BYTE_3
v_cvt_pk_fp8_f32 v29, v3, v6
v_lshrrev_b32 v7, 4, v2
v_cvt_off_f32_i4 v3, v7
v_cvt_off_f32_i4 v6, v7, src0_sel:BYTE_2
v_cvt_pk_fp8_f32 v28, v3, v6, op_sel:[0, 0, 1]
v_cvt_off_f32_i4 v3, v7, src0_sel:BYTE_1
v_cvt_off_f32_i4 v6, v7, src0_sel:BYTE_3
v_cvt_pk_fp8_f32 v29, v3, v6, op_sel:[0, 0, 1]

	;;#ASMEND
	s_nop 0
	v_mov_b32_e32 v2, v23
	;;#ASMSTART
	v_cvt_off_f32_i4 v3, v2
v_cvt_off_f32_i4 v6, v2, src0_sel:BYTE_2
v_cvt_pk_fp8_f32 v30, v3, v6
v_cvt_off_f32_i4 v3, v2, src0_sel:BYTE_1
v_cvt_off_f32_i4 v6, v2, src0_sel:BYTE_3
v_cvt_pk_fp8_f32 v31, v3, v6
v_lshrrev_b32 v7, 4, v2
v_cvt_off_f32_i4 v3, v7
v_cvt_off_f32_i4 v6, v7, src0_sel:BYTE_2
v_cvt_pk_fp8_f32 v30, v3, v6, op_sel:[0, 0, 1]
v_cvt_off_f32_i4 v3, v7, src0_sel:BYTE_1
v_cvt_off_f32_i4 v6, v7, src0_sel:BYTE_3
v_cvt_pk_fp8_f32 v31, v3, v6, op_sel:[0, 0, 1]

	;;#ASMEND
	s_nop 0
	v_mov_b32_e32 v2, v180
	;;#ASMSTART
	v_cvt_off_f32_i4 v3, v2
v_cvt_off_f32_i4 v6, v2, src0_sel:BYTE_2
v_cvt_pk_fp8_f32 v32, v3, v6
v_cvt_off_f32_i4 v3, v2, src0_sel:BYTE_1
v_cvt_off_f32_i4 v6, v2, src0_sel:BYTE_3
v_cvt_pk_fp8_f32 v33, v3, v6
v_lshrrev_b32 v7, 4, v2
v_cvt_off_f32_i4 v3, v7
v_cvt_off_f32_i4 v6, v7, src0_sel:BYTE_2
v_cvt_pk_fp8_f32 v32, v3, v6, op_sel:[0, 0, 1]
v_cvt_off_f32_i4 v3, v7, src0_sel:BYTE_1
v_cvt_off_f32_i4 v6, v7, src0_sel:BYTE_3
v_cvt_pk_fp8_f32 v33, v3, v6, op_sel:[0, 0, 1]

	;;#ASMEND
	s_nop 0
	v_mov_b32_e32 v2, v181
	;;#ASMSTART
	v_cvt_off_f32_i4 v3, v2
v_cvt_off_f32_i4 v6, v2, src0_sel:BYTE_2
v_cvt_pk_fp8_f32 v34, v3, v6
v_cvt_off_f32_i4 v3, v2, src0_sel:BYTE_1
v_cvt_off_f32_i4 v6, v2, src0_sel:BYTE_3
v_cvt_pk_fp8_f32 v35, v3, v6
v_lshrrev_b32 v7, 4, v2
v_cvt_off_f32_i4 v3, v7
v_cvt_off_f32_i4 v6, v7, src0_sel:BYTE_2
v_cvt_pk_fp8_f32 v34, v3, v6, op_sel:[0, 0, 1]
v_cvt_off_f32_i4 v3, v7, src0_sel:BYTE_1
v_cvt_off_f32_i4 v6, v7, src0_sel:BYTE_3
v_cvt_pk_fp8_f32 v35, v3, v6, op_sel:[0, 0, 1]

	;;#ASMEND
	s_nop 0
	v_mov_b32_e32 v2, v182
	;;#ASMSTART
	v_cvt_off_f32_i4 v3, v2
v_cvt_off_f32_i4 v6, v2, src0_sel:BYTE_2
v_cvt_pk_fp8_f32 v36, v3, v6
v_cvt_off_f32_i4 v3, v2, src0_sel:BYTE_1
v_cvt_off_f32_i4 v6, v2, src0_sel:BYTE_3
v_cvt_pk_fp8_f32 v37, v3, v6
v_lshrrev_b32 v7, 4, v2
v_cvt_off_f32_i4 v3, v7
v_cvt_off_f32_i4 v6, v7, src0_sel:BYTE_2
v_cvt_pk_fp8_f32 v36, v3, v6, op_sel:[0, 0, 1]
v_cvt_off_f32_i4 v3, v7, src0_sel:BYTE_1
v_cvt_off_f32_i4 v6, v7, src0_sel:BYTE_3
v_cvt_pk_fp8_f32 v37, v3, v6, op_sel:[0, 0, 1]

	;;#ASMEND
	s_nop 0
	v_mov_b32_e32 v2, v60
	;;#ASMSTART
	v_cvt_off_f32_i4 v3, v2
v_cvt_off_f32_i4 v6, v2, src0_sel:BYTE_2
v_cvt_pk_fp8_f32 v38, v3, v6
v_cvt_off_f32_i4 v3, v2, src0_sel:BYTE_1
v_cvt_off_f32_i4 v6, v2, src0_sel:BYTE_3
v_cvt_pk_fp8_f32 v39, v3, v6
v_lshrrev_b32 v7, 4, v2
v_cvt_off_f32_i4 v3, v7
v_cvt_off_f32_i4 v6, v7, src0_sel:BYTE_2
v_cvt_pk_fp8_f32 v38, v3, v6, op_sel:[0, 0, 1]
v_cvt_off_f32_i4 v3, v7, src0_sel:BYTE_1
v_cvt_off_f32_i4 v6, v7, src0_sel:BYTE_3
v_cvt_pk_fp8_f32 v39, v3, v6, op_sel:[0, 0, 1]

	;;#ASMEND
	s_nop 0
	v_mov_b32_e32 v2, v176
	;;#ASMSTART
	v_cvt_off_f32_i4 v3, v2
v_cvt_off_f32_i4 v6, v2, src0_sel:BYTE_2
v_cvt_pk_fp8_f32 v48, v3, v6
v_cvt_off_f32_i4 v3, v2, src0_sel:BYTE_1
v_cvt_off_f32_i4 v6, v2, src0_sel:BYTE_3
v_cvt_pk_fp8_f32 v49, v3, v6
v_lshrrev_b32 v7, 4, v2
v_cvt_off_f32_i4 v3, v7
v_cvt_off_f32_i4 v6, v7, src0_sel:BYTE_2
v_cvt_pk_fp8_f32 v48, v3, v6, op_sel:[0, 0, 1]
v_cvt_off_f32_i4 v3, v7, src0_sel:BYTE_1
v_cvt_off_f32_i4 v6, v7, src0_sel:BYTE_3
v_cvt_pk_fp8_f32 v49, v3, v6, op_sel:[0, 0, 1]

	;;#ASMEND
	s_nop 0
	v_mov_b32_e32 v2, v177
	;;#ASMSTART
	v_cvt_off_f32_i4 v3, v2
v_cvt_off_f32_i4 v6, v2, src0_sel:BYTE_2
v_cvt_pk_fp8_f32 v50, v3, v6
v_cvt_off_f32_i4 v3, v2, src0_sel:BYTE_1
v_cvt_off_f32_i4 v6, v2, src0_sel:BYTE_3
v_cvt_pk_fp8_f32 v51, v3, v6
v_lshrrev_b32 v7, 4, v2
v_cvt_off_f32_i4 v3, v7
v_cvt_off_f32_i4 v6, v7, src0_sel:BYTE_2
v_cvt_pk_fp8_f32 v50, v3, v6, op_sel:[0, 0, 1]
v_cvt_off_f32_i4 v3, v7, src0_sel:BYTE_1
v_cvt_off_f32_i4 v6, v7, src0_sel:BYTE_3
v_cvt_pk_fp8_f32 v51, v3, v6, op_sel:[0, 0, 1]

	;;#ASMEND
	s_nop 0
	v_mov_b32_e32 v2, v178
	;;#ASMSTART
	v_cvt_off_f32_i4 v3, v2
v_cvt_off_f32_i4 v6, v2, src0_sel:BYTE_2
v_cvt_pk_fp8_f32 v52, v3, v6
v_cvt_off_f32_i4 v3, v2, src0_sel:BYTE_1
v_cvt_off_f32_i4 v6, v2, src0_sel:BYTE_3
v_cvt_pk_fp8_f32 v53, v3, v6
v_lshrrev_b32 v7, 4, v2
v_cvt_off_f32_i4 v3, v7
v_cvt_off_f32_i4 v6, v7, src0_sel:BYTE_2
v_cvt_pk_fp8_f32 v52, v3, v6, op_sel:[0, 0, 1]
v_cvt_off_f32_i4 v3, v7, src0_sel:BYTE_1
v_cvt_off_f32_i4 v6, v7, src0_sel:BYTE_3
v_cvt_pk_fp8_f32 v53, v3, v6, op_sel:[0, 0, 1]

	;;#ASMEND
	s_nop 0
	v_mov_b32_e32 v2, v61
	;;#ASMSTART
	v_cvt_off_f32_i4 v3, v2
v_cvt_off_f32_i4 v6, v2, src0_sel:BYTE_2
v_cvt_pk_fp8_f32 v54, v3, v6
v_cvt_off_f32_i4 v3, v2, src0_sel:BYTE_1
v_cvt_off_f32_i4 v6, v2, src0_sel:BYTE_3
v_cvt_pk_fp8_f32 v55, v3, v6
v_lshrrev_b32 v7, 4, v2
v_cvt_off_f32_i4 v3, v7
v_cvt_off_f32_i4 v6, v7, src0_sel:BYTE_2
v_cvt_pk_fp8_f32 v54, v3, v6, op_sel:[0, 0, 1]
v_cvt_off_f32_i4 v3, v7, src0_sel:BYTE_1
v_cvt_off_f32_i4 v6, v7, src0_sel:BYTE_3
v_cvt_pk_fp8_f32 v55, v3, v6, op_sel:[0, 0, 1]

	;;#ASMEND
	s_nop 0
	v_mov_b32_e32 v2, v164
	;;#ASMSTART
	v_cvt_off_f32_i4 v3, v2
v_cvt_off_f32_i4 v6, v2, src0_sel:BYTE_2
v_cvt_pk_fp8_f32 v64, v3, v6
v_cvt_off_f32_i4 v3, v2, src0_sel:BYTE_1
v_cvt_off_f32_i4 v6, v2, src0_sel:BYTE_3
v_cvt_pk_fp8_f32 v65, v3, v6
v_lshrrev_b32 v7, 4, v2
v_cvt_off_f32_i4 v3, v7
v_cvt_off_f32_i4 v6, v7, src0_sel:BYTE_2
v_cvt_pk_fp8_f32 v64, v3, v6, op_sel:[0, 0, 1]
v_cvt_off_f32_i4 v3, v7, src0_sel:BYTE_1
v_cvt_off_f32_i4 v6, v7, src0_sel:BYTE_3
v_cvt_pk_fp8_f32 v65, v3, v6, op_sel:[0, 0, 1]

	;;#ASMEND
	s_nop 0
	v_mov_b32_e32 v2, v165
	;;#ASMSTART
	v_cvt_off_f32_i4 v3, v2
v_cvt_off_f32_i4 v6, v2, src0_sel:BYTE_2
v_cvt_pk_fp8_f32 v66, v3, v6
v_cvt_off_f32_i4 v3, v2, src0_sel:BYTE_1
v_cvt_off_f32_i4 v6, v2, src0_sel:BYTE_3
v_cvt_pk_fp8_f32 v67, v3, v6
v_lshrrev_b32 v7, 4, v2
v_cvt_off_f32_i4 v3, v7
v_cvt_off_f32_i4 v6, v7, src0_sel:BYTE_2
v_cvt_pk_fp8_f32 v66, v3, v6, op_sel:[0, 0, 1]
v_cvt_off_f32_i4 v3, v7, src0_sel:BYTE_1
v_cvt_off_f32_i4 v6, v7, src0_sel:BYTE_3
v_cvt_pk_fp8_f32 v67, v3, v6, op_sel:[0, 0, 1]

	;;#ASMEND
	s_nop 0
	v_mov_b32_e32 v2, v166
	;;#ASMSTART
	v_cvt_off_f32_i4 v3, v2
v_cvt_off_f32_i4 v6, v2, src0_sel:BYTE_2
v_cvt_pk_fp8_f32 v68, v3, v6
v_cvt_off_f32_i4 v3, v2, src0_sel:BYTE_1
v_cvt_off_f32_i4 v6, v2, src0_sel:BYTE_3
v_cvt_pk_fp8_f32 v69, v3, v6
v_lshrrev_b32 v7, 4, v2
v_cvt_off_f32_i4 v3, v7
v_cvt_off_f32_i4 v6, v7, src0_sel:BYTE_2
v_cvt_pk_fp8_f32 v68, v3, v6, op_sel:[0, 0, 1]
v_cvt_off_f32_i4 v3, v7, src0_sel:BYTE_1
v_cvt_off_f32_i4 v6, v7, src0_sel:BYTE_3
v_cvt_pk_fp8_f32 v69, v3, v6, op_sel:[0, 0, 1]

	;;#ASMEND
	s_nop 0
	v_mov_b32_e32 v2, v62
	;;#ASMSTART
	v_cvt_off_f32_i4 v3, v2
v_cvt_off_f32_i4 v6, v2, src0_sel:BYTE_2
v_cvt_pk_fp8_f32 v70, v3, v6
v_cvt_off_f32_i4 v3, v2, src0_sel:BYTE_1
v_cvt_off_f32_i4 v6, v2, src0_sel:BYTE_3
v_cvt_pk_fp8_f32 v71, v3, v6
v_lshrrev_b32 v7, 4, v2
v_cvt_off_f32_i4 v3, v7
v_cvt_off_f32_i4 v6, v7, src0_sel:BYTE_2
v_cvt_pk_fp8_f32 v70, v3, v6, op_sel:[0, 0, 1]
v_cvt_off_f32_i4 v3, v7, src0_sel:BYTE_1
v_cvt_off_f32_i4 v6, v7, src0_sel:BYTE_3
v_cvt_pk_fp8_f32 v71, v3, v6, op_sel:[0, 0, 1]

	;;#ASMEND
	s_nop 0
	v_mov_b32_e32 v2, v144
	;;#ASMSTART
	v_cvt_off_f32_i4 v3, v2
v_cvt_off_f32_i4 v6, v2, src0_sel:BYTE_2
v_cvt_pk_fp8_f32 v80, v3, v6
v_cvt_off_f32_i4 v3, v2, src0_sel:BYTE_1
v_cvt_off_f32_i4 v6, v2, src0_sel:BYTE_3
v_cvt_pk_fp8_f32 v81, v3, v6
v_lshrrev_b32 v7, 4, v2
v_cvt_off_f32_i4 v3, v7
v_cvt_off_f32_i4 v6, v7, src0_sel:BYTE_2
v_cvt_pk_fp8_f32 v80, v3, v6, op_sel:[0, 0, 1]
v_cvt_off_f32_i4 v3, v7, src0_sel:BYTE_1
v_cvt_off_f32_i4 v6, v7, src0_sel:BYTE_3
v_cvt_pk_fp8_f32 v81, v3, v6, op_sel:[0, 0, 1]

	;;#ASMEND
	s_nop 0
	v_mov_b32_e32 v2, v145
	;;#ASMSTART
	v_cvt_off_f32_i4 v3, v2
v_cvt_off_f32_i4 v6, v2, src0_sel:BYTE_2
v_cvt_pk_fp8_f32 v82, v3, v6
v_cvt_off_f32_i4 v3, v2, src0_sel:BYTE_1
v_cvt_off_f32_i4 v6, v2, src0_sel:BYTE_3
v_cvt_pk_fp8_f32 v83, v3, v6
v_lshrrev_b32 v7, 4, v2
v_cvt_off_f32_i4 v3, v7
v_cvt_off_f32_i4 v6, v7, src0_sel:BYTE_2
v_cvt_pk_fp8_f32 v82, v3, v6, op_sel:[0, 0, 1]
v_cvt_off_f32_i4 v3, v7, src0_sel:BYTE_1
v_cvt_off_f32_i4 v6, v7, src0_sel:BYTE_3
v_cvt_pk_fp8_f32 v83, v3, v6, op_sel:[0, 0, 1]

	;;#ASMEND
	s_nop 0
	v_mov_b32_e32 v2, v146
	;;#ASMSTART
	v_cvt_off_f32_i4 v3, v2
v_cvt_off_f32_i4 v6, v2, src0_sel:BYTE_2
v_cvt_pk_fp8_f32 v84, v3, v6
v_cvt_off_f32_i4 v3, v2, src0_sel:BYTE_1
v_cvt_off_f32_i4 v6, v2, src0_sel:BYTE_3
v_cvt_pk_fp8_f32 v85, v3, v6
v_lshrrev_b32 v7, 4, v2
v_cvt_off_f32_i4 v3, v7
v_cvt_off_f32_i4 v6, v7, src0_sel:BYTE_2
v_cvt_pk_fp8_f32 v84, v3, v6, op_sel:[0, 0, 1]
v_cvt_off_f32_i4 v3, v7, src0_sel:BYTE_1
v_cvt_off_f32_i4 v6, v7, src0_sel:BYTE_3
v_cvt_pk_fp8_f32 v85, v3, v6, op_sel:[0, 0, 1]

	;;#ASMEND
	s_nop 0
	v_mov_b32_e32 v2, v74
	;;#ASMSTART
	v_cvt_off_f32_i4 v3, v2
v_cvt_off_f32_i4 v6, v2, src0_sel:BYTE_2
v_cvt_pk_fp8_f32 v86, v3, v6
v_cvt_off_f32_i4 v3, v2, src0_sel:BYTE_1
v_cvt_off_f32_i4 v6, v2, src0_sel:BYTE_3
v_cvt_pk_fp8_f32 v87, v3, v6
v_lshrrev_b32 v7, 4, v2
v_cvt_off_f32_i4 v3, v7
v_cvt_off_f32_i4 v6, v7, src0_sel:BYTE_2
v_cvt_pk_fp8_f32 v86, v3, v6, op_sel:[0, 0, 1]
v_cvt_off_f32_i4 v3, v7, src0_sel:BYTE_1
v_cvt_off_f32_i4 v6, v7, src0_sel:BYTE_3
v_cvt_pk_fp8_f32 v87, v3, v6, op_sel:[0, 0, 1]

	;;#ASMEND
	s_nop 0
	v_mov_b32_e32 v2, v148
	;;#ASMSTART
	v_cvt_off_f32_i4 v3, v2
v_cvt_off_f32_i4 v6, v2, src0_sel:BYTE_2
v_cvt_pk_fp8_f32 v96, v3, v6
v_cvt_off_f32_i4 v3, v2, src0_sel:BYTE_1
v_cvt_off_f32_i4 v6, v2, src0_sel:BYTE_3
v_cvt_pk_fp8_f32 v97, v3, v6
v_lshrrev_b32 v7, 4, v2
v_cvt_off_f32_i4 v3, v7
v_cvt_off_f32_i4 v6, v7, src0_sel:BYTE_2
v_cvt_pk_fp8_f32 v96, v3, v6, op_sel:[0, 0, 1]
v_cvt_off_f32_i4 v3, v7, src0_sel:BYTE_1
v_cvt_off_f32_i4 v6, v7, src0_sel:BYTE_3
v_cvt_pk_fp8_f32 v97, v3, v6, op_sel:[0, 0, 1]

	;;#ASMEND
	s_nop 0
	v_mov_b32_e32 v2, v149
	;;#ASMSTART
	v_cvt_off_f32_i4 v3, v2
v_cvt_off_f32_i4 v6, v2, src0_sel:BYTE_2
v_cvt_pk_fp8_f32 v98, v3, v6
v_cvt_off_f32_i4 v3, v2, src0_sel:BYTE_1
v_cvt_off_f32_i4 v6, v2, src0_sel:BYTE_3
v_cvt_pk_fp8_f32 v99, v3, v6
v_lshrrev_b32 v7, 4, v2
v_cvt_off_f32_i4 v3, v7
v_cvt_off_f32_i4 v6, v7, src0_sel:BYTE_2
v_cvt_pk_fp8_f32 v98, v3, v6, op_sel:[0, 0, 1]
v_cvt_off_f32_i4 v3, v7, src0_sel:BYTE_1
v_cvt_off_f32_i4 v6, v7, src0_sel:BYTE_3
v_cvt_pk_fp8_f32 v99, v3, v6, op_sel:[0, 0, 1]

	;;#ASMEND
	s_nop 0
	v_mov_b32_e32 v2, v150
	;;#ASMSTART
	v_cvt_off_f32_i4 v3, v2
v_cvt_off_f32_i4 v6, v2, src0_sel:BYTE_2
v_cvt_pk_fp8_f32 v100, v3, v6
v_cvt_off_f32_i4 v3, v2, src0_sel:BYTE_1
v_cvt_off_f32_i4 v6, v2, src0_sel:BYTE_3
v_cvt_pk_fp8_f32 v101, v3, v6
v_lshrrev_b32 v7, 4, v2
v_cvt_off_f32_i4 v3, v7
v_cvt_off_f32_i4 v6, v7, src0_sel:BYTE_2
v_cvt_pk_fp8_f32 v100, v3, v6, op_sel:[0, 0, 1]
v_cvt_off_f32_i4 v3, v7, src0_sel:BYTE_1
v_cvt_off_f32_i4 v6, v7, src0_sel:BYTE_3
v_cvt_pk_fp8_f32 v101, v3, v6, op_sel:[0, 0, 1]

	;;#ASMEND
	s_nop 0
	v_mov_b32_e32 v2, v76
	;;#ASMSTART
	v_cvt_off_f32_i4 v3, v2
v_cvt_off_f32_i4 v6, v2, src0_sel:BYTE_2
v_cvt_pk_fp8_f32 v102, v3, v6
v_cvt_off_f32_i4 v3, v2, src0_sel:BYTE_1
v_cvt_off_f32_i4 v6, v2, src0_sel:BYTE_3
v_cvt_pk_fp8_f32 v103, v3, v6
v_lshrrev_b32 v7, 4, v2
v_cvt_off_f32_i4 v3, v7
v_cvt_off_f32_i4 v6, v7, src0_sel:BYTE_2
v_cvt_pk_fp8_f32 v102, v3, v6, op_sel:[0, 0, 1]
v_cvt_off_f32_i4 v3, v7, src0_sel:BYTE_1
v_cvt_off_f32_i4 v6, v7, src0_sel:BYTE_3
v_cvt_pk_fp8_f32 v103, v3, v6, op_sel:[0, 0, 1]

	;;#ASMEND
	s_nop 0
	v_mov_b32_e32 v2, v160
	;;#ASMSTART
	v_cvt_off_f32_i4 v3, v2
v_cvt_off_f32_i4 v6, v2, src0_sel:BYTE_2
v_cvt_pk_fp8_f32 v112, v3, v6
v_cvt_off_f32_i4 v3, v2, src0_sel:BYTE_1
v_cvt_off_f32_i4 v6, v2, src0_sel:BYTE_3
v_cvt_pk_fp8_f32 v113, v3, v6
v_lshrrev_b32 v7, 4, v2
v_cvt_off_f32_i4 v3, v7
v_cvt_off_f32_i4 v6, v7, src0_sel:BYTE_2
v_cvt_pk_fp8_f32 v112, v3, v6, op_sel:[0, 0, 1]
v_cvt_off_f32_i4 v3, v7, src0_sel:BYTE_1
v_cvt_off_f32_i4 v6, v7, src0_sel:BYTE_3
v_cvt_pk_fp8_f32 v113, v3, v6, op_sel:[0, 0, 1]

	;;#ASMEND
	s_nop 0
	v_mov_b32_e32 v2, v161
	;;#ASMSTART
	v_cvt_off_f32_i4 v3, v2
v_cvt_off_f32_i4 v6, v2, src0_sel:BYTE_2
v_cvt_pk_fp8_f32 v114, v3, v6
v_cvt_off_f32_i4 v3, v2, src0_sel:BYTE_1
v_cvt_off_f32_i4 v6, v2, src0_sel:BYTE_3
v_cvt_pk_fp8_f32 v115, v3, v6
v_lshrrev_b32 v7, 4, v2
v_cvt_off_f32_i4 v3, v7
v_cvt_off_f32_i4 v6, v7, src0_sel:BYTE_2
v_cvt_pk_fp8_f32 v114, v3, v6, op_sel:[0, 0, 1]
v_cvt_off_f32_i4 v3, v7, src0_sel:BYTE_1
v_cvt_off_f32_i4 v6, v7, src0_sel:BYTE_3
v_cvt_pk_fp8_f32 v115, v3, v6, op_sel:[0, 0, 1]

	;;#ASMEND
	s_nop 0
	v_mov_b32_e32 v2, v162
	;;#ASMSTART
	v_cvt_off_f32_i4 v3, v2
v_cvt_off_f32_i4 v6, v2, src0_sel:BYTE_2
v_cvt_pk_fp8_f32 v116, v3, v6
v_cvt_off_f32_i4 v3, v2, src0_sel:BYTE_1
v_cvt_off_f32_i4 v6, v2, src0_sel:BYTE_3
v_cvt_pk_fp8_f32 v117, v3, v6
v_lshrrev_b32 v7, 4, v2
v_cvt_off_f32_i4 v3, v7
v_cvt_off_f32_i4 v6, v7, src0_sel:BYTE_2
v_cvt_pk_fp8_f32 v116, v3, v6, op_sel:[0, 0, 1]
v_cvt_off_f32_i4 v3, v7, src0_sel:BYTE_1
v_cvt_off_f32_i4 v6, v7, src0_sel:BYTE_3
v_cvt_pk_fp8_f32 v117, v3, v6, op_sel:[0, 0, 1]

	;;#ASMEND
	s_nop 0
	v_mov_b32_e32 v2, v89
	;;#ASMSTART
	v_cvt_off_f32_i4 v3, v2
v_cvt_off_f32_i4 v6, v2, src0_sel:BYTE_2
v_cvt_pk_fp8_f32 v118, v3, v6
v_cvt_off_f32_i4 v3, v2, src0_sel:BYTE_1
v_cvt_off_f32_i4 v6, v2, src0_sel:BYTE_3
v_cvt_pk_fp8_f32 v119, v3, v6
v_lshrrev_b32 v7, 4, v2
v_cvt_off_f32_i4 v3, v7
v_cvt_off_f32_i4 v6, v7, src0_sel:BYTE_2
v_cvt_pk_fp8_f32 v118, v3, v6, op_sel:[0, 0, 1]
v_cvt_off_f32_i4 v3, v7, src0_sel:BYTE_1
v_cvt_off_f32_i4 v6, v7, src0_sel:BYTE_3
v_cvt_pk_fp8_f32 v119, v3, v6, op_sel:[0, 0, 1]

	;;#ASMEND
	; sched_barrier mask(0x00000000)
	flat_load_dwordx4 a[0:3], v[20:21] offset:768
	flat_load_dwordx4 a[4:7], v[20:21] offset:784
	;; [unrolled: 1-line block ×8, first 2 shown]
	s_movk_i32 s16, 0xe0
	s_waitcnt vmcnt(0) lgkmcnt(0)
	v_mfma_f32_16x16x128_f8f6f4 a[0:3], v[128:135], v[10:17], a[0:3]
	s_nop 11
	flat_store_dwordx4 v[20:21], a[0:3] offset:768
	v_mfma_f32_16x16x128_f8f6f4 a[4:7], v[128:135], v[24:31], a[4:7]
	v_mfma_f32_16x16x128_f8f6f4 a[8:11], v[128:135], v[32:39], a[8:11]
	s_nop 10
	flat_store_dwordx4 v[20:21], a[4:7] offset:784
	v_mfma_f32_16x16x128_f8f6f4 a[12:15], v[128:135], v[48:55], a[12:15]
	; sched_group_barrier mask(0x00000008) size(4) SyncID(0)
	; sched_group_barrier mask(0x00000100) size(1) SyncID(0)
	flat_store_dwordx4 v[20:21], a[8:11] offset:800
	v_mfma_f32_16x16x128_f8f6f4 a[16:19], v[128:135], v[64:71], a[16:19]
	s_nop 9
	flat_store_dwordx4 v[20:21], a[12:15] offset:816
	v_mfma_f32_16x16x128_f8f6f4 a[20:23], v[128:135], v[80:87], a[20:23]
	flat_store_dwordx4 v[20:21], a[16:19] offset:832
	v_mfma_f32_16x16x128_f8f6f4 a[24:27], v[128:135], v[96:103], a[24:27]
	s_nop 9
	flat_store_dwordx4 v[20:21], a[20:23] offset:848
	v_mfma_f32_16x16x128_f8f6f4 a[28:31], v[128:135], v[112:119], a[28:31]
	; sched_group_barrier mask(0x00000008) size(4) SyncID(0)
	; sched_group_barrier mask(0x00000100) size(1) SyncID(0)
	flat_store_dwordx4 v[20:21], a[24:27] offset:864
	s_nop 10
	flat_store_dwordx4 v[20:21], a[28:31] offset:880
	flat_load_dwordx2 v[2:3], v[0:1] offset:1148
	flat_load_dwordx2 v[6:7], v[0:1] offset:1164
	flat_load_dwordx4 v[10:13], v[0:1] offset:1176
	flat_load_dwordx3 v[14:16], v[0:1] offset:1132
	flat_load_dwordx2 v[18:19], v[8:9]
	s_waitcnt vmcnt(0) lgkmcnt(0)
	v_sub_u32_e32 v2, v2, v7
	v_sub_u32_e32 v7, v3, v6
	v_add_u32_e32 v13, 16, v13
	v_add_u32_e32 v6, v6, v10
	v_add3_u32 v2, v2, v11, s16
	v_ashrrev_i32_e32 v10, 31, v13
	v_sub_u32_e32 v3, v3, v6
	v_ashrrev_i32_e32 v6, 31, v2
	v_lshrrev_b32_e32 v10, 28, v10
	v_lshrrev_b32_e32 v6, 29, v6
	v_sub_u32_e32 v11, v2, v16
	v_add_u32_e32 v10, v13, v10
	v_add_u32_e32 v6, v2, v6
	v_lshl_add_u32 v11, v11, 7, v14
	v_lshrrev_b32_e32 v14, 4, v10
	v_and_b32_e32 v6, -8, v6
	v_add_u32_e32 v3, v3, v14
	v_sub_u32_e32 v2, v2, v6
	v_xor_b32_e32 v6, v2, v7
	v_xor_b32_e32 v2, v3, v2
	v_and_b32_e32 v10, -16, v10
	v_sub_u32_e32 v3, v6, v15
	v_sub_u32_e32 v6, v2, v15
	;; [unrolled: 1-line block ×4, first 2 shown]
	v_lshl_add_u32 v2, v3, 4, v11
	v_lshlrev_b32_e32 v6, 4, v6
	v_ashrrev_i32_e32 v3, 31, v2
	v_add3_u32 v6, v12, v10, v6
	v_lshl_add_u64 v[2:3], v[18:19], 0, v[2:3]
	v_ashrrev_i32_e32 v7, 31, v6
	flat_load_dwordx4 v[128:131], v[2:3]
	v_lshl_add_u64 v[2:3], v[18:19], 0, v[6:7]
	flat_load_dwordx4 v[132:135], v[2:3]
	;;#ASMSTART
	v_cvt_off_f32_i4 v2, v196
v_cvt_off_f32_i4 v3, v196, src0_sel:BYTE_2
v_cvt_pk_fp8_f32 v112, v2, v3
v_cvt_off_f32_i4 v2, v196, src0_sel:BYTE_1
v_cvt_off_f32_i4 v3, v196, src0_sel:BYTE_3
v_cvt_pk_fp8_f32 v113, v2, v3
v_lshrrev_b32 v6, 4, v196
v_cvt_off_f32_i4 v2, v6
v_cvt_off_f32_i4 v3, v6, src0_sel:BYTE_2
v_cvt_pk_fp8_f32 v112, v2, v3, op_sel:[0, 0, 1]
v_cvt_off_f32_i4 v2, v6, src0_sel:BYTE_1
v_cvt_off_f32_i4 v3, v6, src0_sel:BYTE_3
v_cvt_pk_fp8_f32 v113, v2, v3, op_sel:[0, 0, 1]

	;;#ASMEND
	s_nop 0
	;;#ASMSTART
	v_cvt_off_f32_i4 v2, v197
v_cvt_off_f32_i4 v3, v197, src0_sel:BYTE_2
v_cvt_pk_fp8_f32 v114, v2, v3
v_cvt_off_f32_i4 v2, v197, src0_sel:BYTE_1
v_cvt_off_f32_i4 v3, v197, src0_sel:BYTE_3
v_cvt_pk_fp8_f32 v115, v2, v3
v_lshrrev_b32 v6, 4, v197
v_cvt_off_f32_i4 v2, v6
v_cvt_off_f32_i4 v3, v6, src0_sel:BYTE_2
v_cvt_pk_fp8_f32 v114, v2, v3, op_sel:[0, 0, 1]
v_cvt_off_f32_i4 v2, v6, src0_sel:BYTE_1
v_cvt_off_f32_i4 v3, v6, src0_sel:BYTE_3
v_cvt_pk_fp8_f32 v115, v2, v3, op_sel:[0, 0, 1]

	;;#ASMEND
	s_nop 0
	;; [unrolled: 17-line block ×31, first 2 shown]
	;;#ASMSTART
	v_cvt_off_f32_i4 v2, v89
v_cvt_off_f32_i4 v3, v89, src0_sel:BYTE_2
v_cvt_pk_fp8_f32 v16, v2, v3
v_cvt_off_f32_i4 v2, v89, src0_sel:BYTE_1
v_cvt_off_f32_i4 v3, v89, src0_sel:BYTE_3
v_cvt_pk_fp8_f32 v17, v2, v3
v_lshrrev_b32 v6, 4, v89
v_cvt_off_f32_i4 v2, v6
v_cvt_off_f32_i4 v3, v6, src0_sel:BYTE_2
v_cvt_pk_fp8_f32 v16, v2, v3, op_sel:[0, 0, 1]
v_cvt_off_f32_i4 v2, v6, src0_sel:BYTE_1
v_cvt_off_f32_i4 v3, v6, src0_sel:BYTE_3
v_cvt_pk_fp8_f32 v17, v2, v3, op_sel:[0, 0, 1]

	;;#ASMEND
	; sched_barrier mask(0x00000000)
	flat_load_ubyte v2, v[4:5] offset:304
	flat_load_ubyte v3, v[4:5] offset:320
	;; [unrolled: 1-line block ×7, first 2 shown]
	flat_load_dwordx4 v[144:147], v[4:5] offset:16
	flat_load_dwordx4 v[148:151], v[4:5] offset:32
	;; [unrolled: 1-line block ×7, first 2 shown]
	flat_load_ubyte v39, v[4:5] offset:288
	flat_load_dwordx4 v[196:199], v[4:5]
	s_waitcnt vmcnt(0) lgkmcnt(0)
	v_and_b32_e32 v2, 1, v2
	v_and_b32_e32 v3, 1, v3
	;; [unrolled: 1-line block ×7, first 2 shown]
	v_cmp_eq_u32_e32 vcc, 1, v2
	v_cmp_eq_u32_e64 s[0:1], 1, v3
	v_cmp_eq_u32_e64 s[2:3], 1, v6
	;; [unrolled: 1-line block ×6, first 2 shown]
	v_cndmask_b32_e32 v147, 0, v147, vcc
	v_cndmask_b32_e32 v146, 0, v146, vcc
	;; [unrolled: 1-line block ×4, first 2 shown]
	v_cndmask_b32_e64 v149, 0, v149, s[0:1]
	v_cndmask_b32_e64 v148, 0, v148, s[0:1]
	;; [unrolled: 1-line block ×24, first 2 shown]
	flat_store_dwordx4 v[4:5], v[144:147] offset:16
	flat_store_dwordx4 v[4:5], v[148:151] offset:32
	;; [unrolled: 1-line block ×7, first 2 shown]
	flat_load_dwordx2 v[56:57], v[4:5] offset:27
	flat_load_dwordx2 v[60:61], v[4:5] offset:43
	;; [unrolled: 1-line block ×6, first 2 shown]
	s_mov_b32 s1, 0xc0c0104
	v_and_b32_e32 v3, 1, v39
	s_mov_b32 s0, 0x3020104
	v_cmp_eq_u32_e32 vcc, 1, v3
	v_perm_b32 v3, v146, v146, s1
	flat_store_byte_d16_hi v[4:5], v146 offset:586
	v_lshrrev_b64 v[58:59], 24, v[148:149]
	v_lshlrev_b32_e32 v6, 8, v150
	v_lshrrev_b64 v[62:63], 24, v[160:161]
	v_lshlrev_b32_e32 v7, 8, v162
	;; [unrolled: 2-line block ×6, first 2 shown]
	v_cndmask_b32_e32 v199, 0, v199, vcc
	v_cndmask_b32_e32 v198, 0, v198, vcc
	;; [unrolled: 1-line block ×4, first 2 shown]
	v_perm_b32 v144, v144, v144, s0
	v_alignbit_b32 v39, v195, v194, 24
	v_lshrrev_b32_e32 v147, 24, v195
	v_or_b32_e32 v59, v59, v6
	v_or_b32_e32 v63, v63, v7
	;; [unrolled: 1-line block ×6, first 2 shown]
	flat_load_dword v2, v[4:5] offset:728
	s_mov_b32 s0, 0x3060104
	flat_store_dwordx4 v[4:5], v[196:199]
	flat_store_dwordx4 v[4:5], v[196:199] offset:560
	flat_store_short v[4:5], v3 offset:584
	flat_store_dwordx2 v[4:5], v[144:145] offset:576
	flat_store_byte v[4:5], v147 offset:687
	flat_store_dword v[4:5], v39 offset:683
	s_waitcnt vmcnt(0) lgkmcnt(0)
	flat_store_dwordx4 v[4:5], v[56:59] offset:587
	flat_store_dwordx4 v[4:5], v[60:63] offset:603
	;; [unrolled: 1-line block ×6, first 2 shown]
	flat_load_dwordx2 v[6:7], v[8:9] offset:16
	v_ashrrev_i32_e32 v3, 31, v2
	s_waitcnt vmcnt(0) lgkmcnt(0)
	v_lshl_add_u64 v[2:3], v[6:7], 0, v[2:3]
	flat_store_dwordx4 v[2:3], v[196:199]
	flat_load_dword v3, v[4:5] offset:776
	v_mov_b32_e32 v2, 0
	flat_load_dword v6, v[4:5] offset:764
	flat_load_dword v18, v[4:5] offset:744
	flat_load_dwordx4 v[144:147], v[4:5] offset:748
	flat_load_dwordx3 v[148:150], v[4:5] offset:728
	s_waitcnt vmcnt(0) lgkmcnt(0)
	v_add_u32_e32 v3, 1, v3
	flat_store_dword v[4:5], v3 offset:776
	v_sub_u32_e32 v6, v3, v6
	v_add_u32_e32 v6, v18, v6
	flat_store_dwordx2 v[4:5], v[2:3] offset:760
	v_ashrrev_i32_e32 v3, 31, v6
	v_lshrrev_b32_e32 v3, 29, v3
	v_add_u32_e32 v3, v6, v3
	v_and_b32_e32 v3, -8, v3
	v_sub_u32_e32 v7, v144, v147
	v_sub_u32_e32 v3, v6, v3
	v_xor_b32_e32 v161, v7, v3
	v_sub_u32_e32 v18, v6, v150
	v_sub_u32_e32 v3, v161, v149
	v_lshlrev_b32_e32 v18, 7, v18
	v_lshlrev_b32_e32 v3, 4, v3
	v_mov_b32_e32 v162, v6
	v_add3_u32 v160, v18, v3, v148
	flat_store_dwordx2 v[4:5], v[6:7] offset:744
	flat_store_dwordx3 v[4:5], v[160:162] offset:728
	flat_load_dwordx2 v[6:7], v[8:9] offset:16
	s_nop 0
	flat_load_dwordx4 v[144:147], v[4:5] offset:576
	v_ashrrev_i32_e32 v161, 31, v160
	s_waitcnt vmcnt(0) lgkmcnt(0)
	v_lshl_add_u64 v[6:7], v[6:7], 0, v[160:161]
	flat_store_dwordx4 v[6:7], v[144:147]
	flat_load_dword v3, v[4:5] offset:776
	s_nop 0
	flat_load_dword v6, v[4:5] offset:764
	flat_load_dword v18, v[4:5] offset:744
	flat_load_dwordx4 v[144:147], v[4:5] offset:748
	flat_load_dwordx3 v[148:150], v[4:5] offset:728
	s_waitcnt vmcnt(0) lgkmcnt(0)
	v_add_u32_e32 v3, 1, v3
	v_sub_u32_e32 v6, v3, v6
	v_add_u32_e32 v6, v18, v6
	flat_store_dword v[4:5], v3 offset:776
	flat_store_dwordx2 v[4:5], v[2:3] offset:760
	v_ashrrev_i32_e32 v3, 31, v6
	v_lshrrev_b32_e32 v3, 29, v3
	v_add_u32_e32 v3, v6, v3
	v_and_b32_e32 v3, -8, v3
	v_sub_u32_e32 v7, v144, v147
	v_sub_u32_e32 v3, v6, v3
	v_xor_b32_e32 v161, v7, v3
	v_sub_u32_e32 v18, v6, v150
	v_sub_u32_e32 v3, v161, v149
	v_lshlrev_b32_e32 v18, 7, v18
	v_lshlrev_b32_e32 v3, 4, v3
	v_mov_b32_e32 v162, v6
	v_add3_u32 v160, v18, v3, v148
	flat_store_dwordx2 v[4:5], v[6:7] offset:744
	flat_store_dwordx3 v[4:5], v[160:162] offset:728
	flat_load_dwordx2 v[6:7], v[8:9] offset:16
	s_nop 0
	flat_load_dwordx4 v[144:147], v[4:5] offset:592
	v_ashrrev_i32_e32 v161, 31, v160
	s_waitcnt vmcnt(0) lgkmcnt(0)
	v_lshl_add_u64 v[6:7], v[6:7], 0, v[160:161]
	flat_store_dwordx4 v[6:7], v[144:147]
	flat_load_dword v3, v[4:5] offset:776
	s_nop 0
	flat_load_dword v6, v[4:5] offset:764
	flat_load_dword v18, v[4:5] offset:744
	flat_load_dwordx4 v[144:147], v[4:5] offset:748
	flat_load_dwordx3 v[148:150], v[4:5] offset:728
	s_waitcnt vmcnt(0) lgkmcnt(0)
	v_add_u32_e32 v3, 1, v3
	v_sub_u32_e32 v6, v3, v6
	v_add_u32_e32 v6, v18, v6
	flat_store_dword v[4:5], v3 offset:776
	;; [unrolled: 34-line block ×6, first 2 shown]
	flat_store_dwordx2 v[4:5], v[2:3] offset:760
	v_ashrrev_i32_e32 v3, 31, v6
	v_lshrrev_b32_e32 v3, 29, v3
	v_add_u32_e32 v3, v6, v3
	v_and_b32_e32 v3, -8, v3
	v_sub_u32_e32 v7, v144, v147
	v_sub_u32_e32 v3, v6, v3
	v_xor_b32_e32 v161, v7, v3
	v_sub_u32_e32 v18, v6, v150
	v_sub_u32_e32 v3, v161, v149
	v_lshlrev_b32_e32 v18, 7, v18
	v_lshlrev_b32_e32 v3, 4, v3
	v_mov_b32_e32 v162, v6
	v_add3_u32 v160, v18, v3, v148
	flat_store_dwordx2 v[4:5], v[6:7] offset:744
	flat_store_dwordx3 v[4:5], v[160:162] offset:728
	flat_load_dwordx2 v[6:7], v[8:9] offset:16
	s_nop 0
	flat_load_dwordx4 v[144:147], v[4:5] offset:672
	v_ashrrev_i32_e32 v161, 31, v160
	s_waitcnt vmcnt(0) lgkmcnt(0)
	v_lshl_add_u64 v[6:7], v[6:7], 0, v[160:161]
	flat_store_dwordx4 v[6:7], v[144:147]
	flat_load_dword v3, v[4:5] offset:776
	s_nop 0
	flat_load_dwordx2 v[6:7], v[4:5] offset:760
	flat_load_dwordx2 v[18:19], v[4:5] offset:744
	flat_load_dwordx3 v[144:146], v[4:5] offset:728
	s_waitcnt vmcnt(0) lgkmcnt(0)
	v_add_u32_e32 v3, -7, v3
	flat_store_dwordx2 v[4:5], v[2:3] offset:760
	v_sub_u32_e32 v19, v19, v6
	v_sub_u32_e32 v6, v3, v7
	v_add_u32_e32 v18, v18, v6
	v_ashrrev_i32_e32 v2, 31, v18
	v_lshrrev_b32_e32 v2, 29, v2
	v_add_u32_e32 v2, v18, v2
	v_and_b32_e32 v2, -8, v2
	v_sub_u32_e32 v2, v18, v2
	v_xor_b32_e32 v147, v19, v2
	flat_store_dword v[4:5], v3 offset:776
	v_sub_u32_e32 v3, v18, v146
	v_sub_u32_e32 v2, v147, v145
	v_lshlrev_b32_e32 v3, 7, v3
	v_lshlrev_b32_e32 v2, 4, v2
	v_mov_b32_e32 v148, v18
	v_add3_u32 v146, v3, v2, v144
	flat_store_dwordx2 v[4:5], v[18:19] offset:744
	flat_store_dwordx3 v[4:5], v[146:148] offset:728
	flat_load_dwordx4 a[0:3], v[20:21] offset:896
	flat_load_dwordx4 a[4:7], v[20:21] offset:912
	;; [unrolled: 1-line block ×8, first 2 shown]
	s_waitcnt vmcnt(0) lgkmcnt(0)
	v_mfma_f32_16x16x128_f8f6f4 a[0:3], v[128:135], v[112:119], a[0:3]
	s_nop 11
	flat_store_dwordx4 v[20:21], a[0:3] offset:896
	v_mfma_f32_16x16x128_f8f6f4 a[4:7], v[128:135], v[96:103], a[4:7]
	v_mfma_f32_16x16x128_f8f6f4 a[8:11], v[128:135], v[80:87], a[8:11]
	s_nop 10
	flat_store_dwordx4 v[20:21], a[4:7] offset:912
	v_mfma_f32_16x16x128_f8f6f4 a[12:15], v[128:135], v[64:71], a[12:15]
	; sched_group_barrier mask(0x00000008) size(4) SyncID(0)
	; sched_group_barrier mask(0x00000100) size(1) SyncID(0)
	flat_store_dwordx4 v[20:21], a[8:11] offset:928
	v_mfma_f32_16x16x128_f8f6f4 a[16:19], v[128:135], v[48:55], a[16:19]
	s_nop 9
	flat_store_dwordx4 v[20:21], a[12:15] offset:944
	v_mfma_f32_16x16x128_f8f6f4 a[20:23], v[128:135], v[30:37], a[20:23]
	flat_store_dwordx4 v[20:21], a[16:19] offset:960
	v_mfma_f32_16x16x128_f8f6f4 a[24:27], v[128:135], v[22:29], a[24:27]
	s_nop 9
	flat_store_dwordx4 v[20:21], a[20:23] offset:976
	v_mfma_f32_16x16x128_f8f6f4 a[28:31], v[128:135], v[10:17], a[28:31]
	; sched_group_barrier mask(0x00000008) size(4) SyncID(0)
	; sched_group_barrier mask(0x00000100) size(1) SyncID(0)
	flat_store_dwordx4 v[20:21], a[24:27] offset:992
	s_nop 10
	flat_store_dwordx4 v[20:21], a[28:31] offset:1008
	s_waitcnt lgkmcnt(0)
	s_barrier
	flat_load_dwordx3 v[2:4], v[0:1] offset:1132
	flat_load_dwordx2 v[10:11], v[0:1] offset:1184
	flat_load_dwordx2 v[6:7], v[0:1] offset:1148
	flat_load_dword v5, v[0:1] offset:1176
	flat_load_dwordx2 v[12:13], v[8:9] offset:16
	s_waitcnt vmcnt(0) lgkmcnt(0)
	v_ashrrev_i32_e32 v15, 31, v2
	v_mov_b32_e32 v14, v2
	v_add_u32_e32 v11, 16, v11
	v_sub_u32_e32 v7, v7, v5
	v_ashrrev_i32_e32 v16, 31, v6
	v_sub_u32_e32 v17, v6, v4
	v_lshl_add_u64 v[4:5], v[12:13], 0, v[14:15]
	v_ashrrev_i32_e32 v14, 31, v11
	v_lshrrev_b32_e32 v15, 29, v16
	flat_load_dwordx4 v[144:147], v[4:5]
	v_lshrrev_b32_e32 v4, 28, v14
	v_add_u32_e32 v5, v6, v15
	v_add_u32_e32 v4, v11, v4
	v_and_b32_e32 v5, 0xffffff8, v5
	v_lshrrev_b32_e32 v14, 4, v4
	v_sub_u32_e32 v5, v6, v5
	v_add_u32_e32 v6, v7, v14
	v_xor_b32_e32 v5, v6, v5
	v_lshl_add_u32 v2, v17, 7, v2
	v_and_b32_e32 v4, -16, v4
	v_sub_u32_e32 v3, v5, v3
	v_sub_u32_e32 v4, v11, v4
	v_lshlrev_b32_e32 v3, 4, v3
	v_sub_u32_e32 v2, v2, v10
	v_add3_u32 v2, v2, v4, v3
	v_ashrrev_i32_e32 v3, 31, v2
	v_lshl_add_u64 v[2:3], v[12:13], 0, v[2:3]
	flat_load_dwordx4 v[148:151], v[2:3]
	v_mov_b32_e32 v3, v208
	;;#ASMSTART
	v_cvt_off_f32_i4 v4, v3
v_cvt_off_f32_i4 v5, v3, src0_sel:BYTE_2
v_cvt_pk_fp8_f32 v12, v4, v5
v_cvt_off_f32_i4 v4, v3, src0_sel:BYTE_1
v_cvt_off_f32_i4 v5, v3, src0_sel:BYTE_3
v_cvt_pk_fp8_f32 v13, v4, v5
v_lshrrev_b32 v6, 4, v3
v_cvt_off_f32_i4 v4, v6
v_cvt_off_f32_i4 v5, v6, src0_sel:BYTE_2
v_cvt_pk_fp8_f32 v12, v4, v5, op_sel:[0, 0, 1]
v_cvt_off_f32_i4 v4, v6, src0_sel:BYTE_1
v_cvt_off_f32_i4 v5, v6, src0_sel:BYTE_3
v_cvt_pk_fp8_f32 v13, v4, v5, op_sel:[0, 0, 1]

	;;#ASMEND
	v_perm_b32 v2, v211, v211, s0
	v_mov_b32_e32 v3, v209
	;;#ASMSTART
	v_cvt_off_f32_i4 v4, v3
v_cvt_off_f32_i4 v5, v3, src0_sel:BYTE_2
v_cvt_pk_fp8_f32 v14, v4, v5
v_cvt_off_f32_i4 v4, v3, src0_sel:BYTE_1
v_cvt_off_f32_i4 v5, v3, src0_sel:BYTE_3
v_cvt_pk_fp8_f32 v15, v4, v5
v_lshrrev_b32 v6, 4, v3
v_cvt_off_f32_i4 v4, v6
v_cvt_off_f32_i4 v5, v6, src0_sel:BYTE_2
v_cvt_pk_fp8_f32 v14, v4, v5, op_sel:[0, 0, 1]
v_cvt_off_f32_i4 v4, v6, src0_sel:BYTE_1
v_cvt_off_f32_i4 v5, v6, src0_sel:BYTE_3
v_cvt_pk_fp8_f32 v15, v4, v5, op_sel:[0, 0, 1]

	;;#ASMEND
	s_nop 0
	v_mov_b32_e32 v3, v210
	;;#ASMSTART
	v_cvt_off_f32_i4 v4, v3
v_cvt_off_f32_i4 v5, v3, src0_sel:BYTE_2
v_cvt_pk_fp8_f32 v16, v4, v5
v_cvt_off_f32_i4 v4, v3, src0_sel:BYTE_1
v_cvt_off_f32_i4 v5, v3, src0_sel:BYTE_3
v_cvt_pk_fp8_f32 v17, v4, v5
v_lshrrev_b32 v6, 4, v3
v_cvt_off_f32_i4 v4, v6
v_cvt_off_f32_i4 v5, v6, src0_sel:BYTE_2
v_cvt_pk_fp8_f32 v16, v4, v5, op_sel:[0, 0, 1]
v_cvt_off_f32_i4 v4, v6, src0_sel:BYTE_1
v_cvt_off_f32_i4 v5, v6, src0_sel:BYTE_3
v_cvt_pk_fp8_f32 v17, v4, v5, op_sel:[0, 0, 1]

	;;#ASMEND
	s_nop 0
	;; [unrolled: 18-line block ×3, first 2 shown]
	v_mov_b32_e32 v4, v212
	;;#ASMSTART
	v_cvt_off_f32_i4 v5, v4
v_cvt_off_f32_i4 v6, v4, src0_sel:BYTE_2
v_cvt_pk_fp8_f32 v22, v5, v6
v_cvt_off_f32_i4 v5, v4, src0_sel:BYTE_1
v_cvt_off_f32_i4 v6, v4, src0_sel:BYTE_3
v_cvt_pk_fp8_f32 v23, v5, v6
v_lshrrev_b32 v7, 4, v4
v_cvt_off_f32_i4 v5, v7
v_cvt_off_f32_i4 v6, v7, src0_sel:BYTE_2
v_cvt_pk_fp8_f32 v22, v5, v6, op_sel:[0, 0, 1]
v_cvt_off_f32_i4 v5, v7, src0_sel:BYTE_1
v_cvt_off_f32_i4 v6, v7, src0_sel:BYTE_3
v_cvt_pk_fp8_f32 v23, v5, v6, op_sel:[0, 0, 1]

	;;#ASMEND
	v_perm_b32 v3, v215, v215, s0
	v_mov_b32_e32 v4, v213
	;;#ASMSTART
	v_cvt_off_f32_i4 v5, v4
v_cvt_off_f32_i4 v6, v4, src0_sel:BYTE_2
v_cvt_pk_fp8_f32 v24, v5, v6
v_cvt_off_f32_i4 v5, v4, src0_sel:BYTE_1
v_cvt_off_f32_i4 v6, v4, src0_sel:BYTE_3
v_cvt_pk_fp8_f32 v25, v5, v6
v_lshrrev_b32 v7, 4, v4
v_cvt_off_f32_i4 v5, v7
v_cvt_off_f32_i4 v6, v7, src0_sel:BYTE_2
v_cvt_pk_fp8_f32 v24, v5, v6, op_sel:[0, 0, 1]
v_cvt_off_f32_i4 v5, v7, src0_sel:BYTE_1
v_cvt_off_f32_i4 v6, v7, src0_sel:BYTE_3
v_cvt_pk_fp8_f32 v25, v5, v6, op_sel:[0, 0, 1]

	;;#ASMEND
	s_nop 0
	v_mov_b32_e32 v4, v214
	;;#ASMSTART
	v_cvt_off_f32_i4 v5, v4
v_cvt_off_f32_i4 v6, v4, src0_sel:BYTE_2
v_cvt_pk_fp8_f32 v26, v5, v6
v_cvt_off_f32_i4 v5, v4, src0_sel:BYTE_1
v_cvt_off_f32_i4 v6, v4, src0_sel:BYTE_3
v_cvt_pk_fp8_f32 v27, v5, v6
v_lshrrev_b32 v7, 4, v4
v_cvt_off_f32_i4 v5, v7
v_cvt_off_f32_i4 v6, v7, src0_sel:BYTE_2
v_cvt_pk_fp8_f32 v26, v5, v6, op_sel:[0, 0, 1]
v_cvt_off_f32_i4 v5, v7, src0_sel:BYTE_1
v_cvt_off_f32_i4 v6, v7, src0_sel:BYTE_3
v_cvt_pk_fp8_f32 v27, v5, v6, op_sel:[0, 0, 1]

	;;#ASMEND
	s_nop 0
	;; [unrolled: 18-line block ×3, first 2 shown]
	v_mov_b32_e32 v5, v224
	;;#ASMSTART
	v_cvt_off_f32_i4 v6, v5
v_cvt_off_f32_i4 v7, v5, src0_sel:BYTE_2
v_cvt_pk_fp8_f32 v30, v6, v7
v_cvt_off_f32_i4 v6, v5, src0_sel:BYTE_1
v_cvt_off_f32_i4 v7, v5, src0_sel:BYTE_3
v_cvt_pk_fp8_f32 v31, v6, v7
v_lshrrev_b32 v10, 4, v5
v_cvt_off_f32_i4 v6, v10
v_cvt_off_f32_i4 v7, v10, src0_sel:BYTE_2
v_cvt_pk_fp8_f32 v30, v6, v7, op_sel:[0, 0, 1]
v_cvt_off_f32_i4 v6, v10, src0_sel:BYTE_1
v_cvt_off_f32_i4 v7, v10, src0_sel:BYTE_3
v_cvt_pk_fp8_f32 v31, v6, v7, op_sel:[0, 0, 1]

	;;#ASMEND
	v_perm_b32 v4, v227, v227, s0
	v_mov_b32_e32 v5, v225
	;;#ASMSTART
	v_cvt_off_f32_i4 v6, v5
v_cvt_off_f32_i4 v7, v5, src0_sel:BYTE_2
v_cvt_pk_fp8_f32 v32, v6, v7
v_cvt_off_f32_i4 v6, v5, src0_sel:BYTE_1
v_cvt_off_f32_i4 v7, v5, src0_sel:BYTE_3
v_cvt_pk_fp8_f32 v33, v6, v7
v_lshrrev_b32 v10, 4, v5
v_cvt_off_f32_i4 v6, v10
v_cvt_off_f32_i4 v7, v10, src0_sel:BYTE_2
v_cvt_pk_fp8_f32 v32, v6, v7, op_sel:[0, 0, 1]
v_cvt_off_f32_i4 v6, v10, src0_sel:BYTE_1
v_cvt_off_f32_i4 v7, v10, src0_sel:BYTE_3
v_cvt_pk_fp8_f32 v33, v6, v7, op_sel:[0, 0, 1]

	;;#ASMEND
	s_nop 0
	v_mov_b32_e32 v5, v226
	;;#ASMSTART
	v_cvt_off_f32_i4 v6, v5
v_cvt_off_f32_i4 v7, v5, src0_sel:BYTE_2
v_cvt_pk_fp8_f32 v34, v6, v7
v_cvt_off_f32_i4 v6, v5, src0_sel:BYTE_1
v_cvt_off_f32_i4 v7, v5, src0_sel:BYTE_3
v_cvt_pk_fp8_f32 v35, v6, v7
v_lshrrev_b32 v10, 4, v5
v_cvt_off_f32_i4 v6, v10
v_cvt_off_f32_i4 v7, v10, src0_sel:BYTE_2
v_cvt_pk_fp8_f32 v34, v6, v7, op_sel:[0, 0, 1]
v_cvt_off_f32_i4 v6, v10, src0_sel:BYTE_1
v_cvt_off_f32_i4 v7, v10, src0_sel:BYTE_3
v_cvt_pk_fp8_f32 v35, v6, v7, op_sel:[0, 0, 1]

	;;#ASMEND
	s_nop 0
	;; [unrolled: 18-line block ×3, first 2 shown]
	v_mov_b32_e32 v6, v228
	;;#ASMSTART
	v_cvt_off_f32_i4 v7, v6
v_cvt_off_f32_i4 v10, v6, src0_sel:BYTE_2
v_cvt_pk_fp8_f32 v48, v7, v10
v_cvt_off_f32_i4 v7, v6, src0_sel:BYTE_1
v_cvt_off_f32_i4 v10, v6, src0_sel:BYTE_3
v_cvt_pk_fp8_f32 v49, v7, v10
v_lshrrev_b32 v11, 4, v6
v_cvt_off_f32_i4 v7, v11
v_cvt_off_f32_i4 v10, v11, src0_sel:BYTE_2
v_cvt_pk_fp8_f32 v48, v7, v10, op_sel:[0, 0, 1]
v_cvt_off_f32_i4 v7, v11, src0_sel:BYTE_1
v_cvt_off_f32_i4 v10, v11, src0_sel:BYTE_3
v_cvt_pk_fp8_f32 v49, v7, v10, op_sel:[0, 0, 1]

	;;#ASMEND
	v_perm_b32 v5, v231, v231, s0
	v_mov_b32_e32 v6, v229
	;;#ASMSTART
	v_cvt_off_f32_i4 v7, v6
v_cvt_off_f32_i4 v10, v6, src0_sel:BYTE_2
v_cvt_pk_fp8_f32 v50, v7, v10
v_cvt_off_f32_i4 v7, v6, src0_sel:BYTE_1
v_cvt_off_f32_i4 v10, v6, src0_sel:BYTE_3
v_cvt_pk_fp8_f32 v51, v7, v10
v_lshrrev_b32 v11, 4, v6
v_cvt_off_f32_i4 v7, v11
v_cvt_off_f32_i4 v10, v11, src0_sel:BYTE_2
v_cvt_pk_fp8_f32 v50, v7, v10, op_sel:[0, 0, 1]
v_cvt_off_f32_i4 v7, v11, src0_sel:BYTE_1
v_cvt_off_f32_i4 v10, v11, src0_sel:BYTE_3
v_cvt_pk_fp8_f32 v51, v7, v10, op_sel:[0, 0, 1]

	;;#ASMEND
	s_nop 0
	v_mov_b32_e32 v6, v230
	;;#ASMSTART
	v_cvt_off_f32_i4 v7, v6
v_cvt_off_f32_i4 v10, v6, src0_sel:BYTE_2
v_cvt_pk_fp8_f32 v52, v7, v10
v_cvt_off_f32_i4 v7, v6, src0_sel:BYTE_1
v_cvt_off_f32_i4 v10, v6, src0_sel:BYTE_3
v_cvt_pk_fp8_f32 v53, v7, v10
v_lshrrev_b32 v11, 4, v6
v_cvt_off_f32_i4 v7, v11
v_cvt_off_f32_i4 v10, v11, src0_sel:BYTE_2
v_cvt_pk_fp8_f32 v52, v7, v10, op_sel:[0, 0, 1]
v_cvt_off_f32_i4 v7, v11, src0_sel:BYTE_1
v_cvt_off_f32_i4 v10, v11, src0_sel:BYTE_3
v_cvt_pk_fp8_f32 v53, v7, v10, op_sel:[0, 0, 1]

	;;#ASMEND
	s_nop 0
	;; [unrolled: 18-line block ×3, first 2 shown]
	v_mov_b32_e32 v7, v240
	;;#ASMSTART
	v_cvt_off_f32_i4 v10, v7
v_cvt_off_f32_i4 v11, v7, src0_sel:BYTE_2
v_cvt_pk_fp8_f32 v64, v10, v11
v_cvt_off_f32_i4 v10, v7, src0_sel:BYTE_1
v_cvt_off_f32_i4 v11, v7, src0_sel:BYTE_3
v_cvt_pk_fp8_f32 v65, v10, v11
v_lshrrev_b32 v38, 4, v7
v_cvt_off_f32_i4 v10, v38
v_cvt_off_f32_i4 v11, v38, src0_sel:BYTE_2
v_cvt_pk_fp8_f32 v64, v10, v11, op_sel:[0, 0, 1]
v_cvt_off_f32_i4 v10, v38, src0_sel:BYTE_1
v_cvt_off_f32_i4 v11, v38, src0_sel:BYTE_3
v_cvt_pk_fp8_f32 v65, v10, v11, op_sel:[0, 0, 1]

	;;#ASMEND
	v_perm_b32 v6, v243, v243, s0
	v_mov_b32_e32 v7, v241
	;;#ASMSTART
	v_cvt_off_f32_i4 v10, v7
v_cvt_off_f32_i4 v11, v7, src0_sel:BYTE_2
v_cvt_pk_fp8_f32 v66, v10, v11
v_cvt_off_f32_i4 v10, v7, src0_sel:BYTE_1
v_cvt_off_f32_i4 v11, v7, src0_sel:BYTE_3
v_cvt_pk_fp8_f32 v67, v10, v11
v_lshrrev_b32 v38, 4, v7
v_cvt_off_f32_i4 v10, v38
v_cvt_off_f32_i4 v11, v38, src0_sel:BYTE_2
v_cvt_pk_fp8_f32 v66, v10, v11, op_sel:[0, 0, 1]
v_cvt_off_f32_i4 v10, v38, src0_sel:BYTE_1
v_cvt_off_f32_i4 v11, v38, src0_sel:BYTE_3
v_cvt_pk_fp8_f32 v67, v10, v11, op_sel:[0, 0, 1]

	;;#ASMEND
	s_nop 0
	v_mov_b32_e32 v7, v242
	;;#ASMSTART
	v_cvt_off_f32_i4 v10, v7
v_cvt_off_f32_i4 v11, v7, src0_sel:BYTE_2
v_cvt_pk_fp8_f32 v68, v10, v11
v_cvt_off_f32_i4 v10, v7, src0_sel:BYTE_1
v_cvt_off_f32_i4 v11, v7, src0_sel:BYTE_3
v_cvt_pk_fp8_f32 v69, v10, v11
v_lshrrev_b32 v38, 4, v7
v_cvt_off_f32_i4 v10, v38
v_cvt_off_f32_i4 v11, v38, src0_sel:BYTE_2
v_cvt_pk_fp8_f32 v68, v10, v11, op_sel:[0, 0, 1]
v_cvt_off_f32_i4 v10, v38, src0_sel:BYTE_1
v_cvt_off_f32_i4 v11, v38, src0_sel:BYTE_3
v_cvt_pk_fp8_f32 v69, v10, v11, op_sel:[0, 0, 1]

	;;#ASMEND
	s_nop 0
	;; [unrolled: 18-line block ×3, first 2 shown]
	v_mov_b32_e32 v10, v244
	;;#ASMSTART
	v_cvt_off_f32_i4 v11, v10
v_cvt_off_f32_i4 v38, v10, src0_sel:BYTE_2
v_cvt_pk_fp8_f32 v80, v11, v38
v_cvt_off_f32_i4 v11, v10, src0_sel:BYTE_1
v_cvt_off_f32_i4 v38, v10, src0_sel:BYTE_3
v_cvt_pk_fp8_f32 v81, v11, v38
v_lshrrev_b32 v39, 4, v10
v_cvt_off_f32_i4 v11, v39
v_cvt_off_f32_i4 v38, v39, src0_sel:BYTE_2
v_cvt_pk_fp8_f32 v80, v11, v38, op_sel:[0, 0, 1]
v_cvt_off_f32_i4 v11, v39, src0_sel:BYTE_1
v_cvt_off_f32_i4 v38, v39, src0_sel:BYTE_3
v_cvt_pk_fp8_f32 v81, v11, v38, op_sel:[0, 0, 1]

	;;#ASMEND
	v_perm_b32 v7, v247, v247, s0
	v_mov_b32_e32 v10, v245
	;;#ASMSTART
	v_cvt_off_f32_i4 v11, v10
v_cvt_off_f32_i4 v38, v10, src0_sel:BYTE_2
v_cvt_pk_fp8_f32 v82, v11, v38
v_cvt_off_f32_i4 v11, v10, src0_sel:BYTE_1
v_cvt_off_f32_i4 v38, v10, src0_sel:BYTE_3
v_cvt_pk_fp8_f32 v83, v11, v38
v_lshrrev_b32 v39, 4, v10
v_cvt_off_f32_i4 v11, v39
v_cvt_off_f32_i4 v38, v39, src0_sel:BYTE_2
v_cvt_pk_fp8_f32 v82, v11, v38, op_sel:[0, 0, 1]
v_cvt_off_f32_i4 v11, v39, src0_sel:BYTE_1
v_cvt_off_f32_i4 v38, v39, src0_sel:BYTE_3
v_cvt_pk_fp8_f32 v83, v11, v38, op_sel:[0, 0, 1]

	;;#ASMEND
	s_nop 0
	v_mov_b32_e32 v10, v246
	;;#ASMSTART
	v_cvt_off_f32_i4 v11, v10
v_cvt_off_f32_i4 v38, v10, src0_sel:BYTE_2
v_cvt_pk_fp8_f32 v84, v11, v38
v_cvt_off_f32_i4 v11, v10, src0_sel:BYTE_1
v_cvt_off_f32_i4 v38, v10, src0_sel:BYTE_3
v_cvt_pk_fp8_f32 v85, v11, v38
v_lshrrev_b32 v39, 4, v10
v_cvt_off_f32_i4 v11, v39
v_cvt_off_f32_i4 v38, v39, src0_sel:BYTE_2
v_cvt_pk_fp8_f32 v84, v11, v38, op_sel:[0, 0, 1]
v_cvt_off_f32_i4 v11, v39, src0_sel:BYTE_1
v_cvt_off_f32_i4 v38, v39, src0_sel:BYTE_3
v_cvt_pk_fp8_f32 v85, v11, v38, op_sel:[0, 0, 1]

	;;#ASMEND
	s_nop 0
	;; [unrolled: 18-line block ×3, first 2 shown]
	v_mov_b32_e32 v11, v40
	;;#ASMSTART
	v_cvt_off_f32_i4 v38, v11
v_cvt_off_f32_i4 v39, v11, src0_sel:BYTE_2
v_cvt_pk_fp8_f32 v96, v38, v39
v_cvt_off_f32_i4 v38, v11, src0_sel:BYTE_1
v_cvt_off_f32_i4 v39, v11, src0_sel:BYTE_3
v_cvt_pk_fp8_f32 v97, v38, v39
v_lshrrev_b32 v98, 4, v11
v_cvt_off_f32_i4 v38, v98
v_cvt_off_f32_i4 v39, v98, src0_sel:BYTE_2
v_cvt_pk_fp8_f32 v96, v38, v39, op_sel:[0, 0, 1]
v_cvt_off_f32_i4 v38, v98, src0_sel:BYTE_1
v_cvt_off_f32_i4 v39, v98, src0_sel:BYTE_3
v_cvt_pk_fp8_f32 v97, v38, v39, op_sel:[0, 0, 1]

	;;#ASMEND
	v_perm_b32 v10, v43, v43, s0
	v_mov_b32_e32 v11, v41
	;;#ASMSTART
	v_cvt_off_f32_i4 v38, v11
v_cvt_off_f32_i4 v39, v11, src0_sel:BYTE_2
v_cvt_pk_fp8_f32 v98, v38, v39
v_cvt_off_f32_i4 v38, v11, src0_sel:BYTE_1
v_cvt_off_f32_i4 v39, v11, src0_sel:BYTE_3
v_cvt_pk_fp8_f32 v99, v38, v39
v_lshrrev_b32 v100, 4, v11
v_cvt_off_f32_i4 v38, v100
v_cvt_off_f32_i4 v39, v100, src0_sel:BYTE_2
v_cvt_pk_fp8_f32 v98, v38, v39, op_sel:[0, 0, 1]
v_cvt_off_f32_i4 v38, v100, src0_sel:BYTE_1
v_cvt_off_f32_i4 v39, v100, src0_sel:BYTE_3
v_cvt_pk_fp8_f32 v99, v38, v39, op_sel:[0, 0, 1]

	;;#ASMEND
	s_nop 0
	v_mov_b32_e32 v11, v42
	;;#ASMSTART
	v_cvt_off_f32_i4 v38, v11
v_cvt_off_f32_i4 v39, v11, src0_sel:BYTE_2
v_cvt_pk_fp8_f32 v100, v38, v39
v_cvt_off_f32_i4 v38, v11, src0_sel:BYTE_1
v_cvt_off_f32_i4 v39, v11, src0_sel:BYTE_3
v_cvt_pk_fp8_f32 v101, v38, v39
v_lshrrev_b32 v102, 4, v11
v_cvt_off_f32_i4 v38, v102
v_cvt_off_f32_i4 v39, v102, src0_sel:BYTE_2
v_cvt_pk_fp8_f32 v100, v38, v39, op_sel:[0, 0, 1]
v_cvt_off_f32_i4 v38, v102, src0_sel:BYTE_1
v_cvt_off_f32_i4 v39, v102, src0_sel:BYTE_3
v_cvt_pk_fp8_f32 v101, v38, v39, op_sel:[0, 0, 1]

	;;#ASMEND
	s_nop 0
	v_mov_b32_e32 v11, v10
	;;#ASMSTART
	v_cvt_off_f32_i4 v38, v11
v_cvt_off_f32_i4 v39, v11, src0_sel:BYTE_2
v_cvt_pk_fp8_f32 v102, v38, v39
v_cvt_off_f32_i4 v38, v11, src0_sel:BYTE_1
v_cvt_off_f32_i4 v39, v11, src0_sel:BYTE_3
v_cvt_pk_fp8_f32 v103, v38, v39
v_lshrrev_b32 v112, 4, v11
v_cvt_off_f32_i4 v38, v112
v_cvt_off_f32_i4 v39, v112, src0_sel:BYTE_2
v_cvt_pk_fp8_f32 v102, v38, v39, op_sel:[0, 0, 1]
v_cvt_off_f32_i4 v38, v112, src0_sel:BYTE_1
v_cvt_off_f32_i4 v39, v112, src0_sel:BYTE_3
v_cvt_pk_fp8_f32 v103, v38, v39, op_sel:[0, 0, 1]

	;;#ASMEND
	s_nop 0
	v_mov_b32_e32 v38, v44
	;;#ASMSTART
	v_cvt_off_f32_i4 v39, v38
v_cvt_off_f32_i4 v114, v38, src0_sel:BYTE_2
v_cvt_pk_fp8_f32 v112, v39, v114
v_cvt_off_f32_i4 v39, v38, src0_sel:BYTE_1
v_cvt_off_f32_i4 v114, v38, src0_sel:BYTE_3
v_cvt_pk_fp8_f32 v113, v39, v114
v_lshrrev_b32 v115, 4, v38
v_cvt_off_f32_i4 v39, v115
v_cvt_off_f32_i4 v114, v115, src0_sel:BYTE_2
v_cvt_pk_fp8_f32 v112, v39, v114, op_sel:[0, 0, 1]
v_cvt_off_f32_i4 v39, v115, src0_sel:BYTE_1
v_cvt_off_f32_i4 v114, v115, src0_sel:BYTE_3
v_cvt_pk_fp8_f32 v113, v39, v114, op_sel:[0, 0, 1]

	;;#ASMEND
	v_perm_b32 v11, v47, v47, s0
	v_mov_b32_e32 v38, v45
	;;#ASMSTART
	v_cvt_off_f32_i4 v39, v38
v_cvt_off_f32_i4 v116, v38, src0_sel:BYTE_2
v_cvt_pk_fp8_f32 v114, v39, v116
v_cvt_off_f32_i4 v39, v38, src0_sel:BYTE_1
v_cvt_off_f32_i4 v116, v38, src0_sel:BYTE_3
v_cvt_pk_fp8_f32 v115, v39, v116
v_lshrrev_b32 v117, 4, v38
v_cvt_off_f32_i4 v39, v117
v_cvt_off_f32_i4 v116, v117, src0_sel:BYTE_2
v_cvt_pk_fp8_f32 v114, v39, v116, op_sel:[0, 0, 1]
v_cvt_off_f32_i4 v39, v117, src0_sel:BYTE_1
v_cvt_off_f32_i4 v116, v117, src0_sel:BYTE_3
v_cvt_pk_fp8_f32 v115, v39, v116, op_sel:[0, 0, 1]

	;;#ASMEND
	s_nop 0
	v_mov_b32_e32 v38, v46
	;;#ASMSTART
	v_cvt_off_f32_i4 v39, v38
v_cvt_off_f32_i4 v118, v38, src0_sel:BYTE_2
v_cvt_pk_fp8_f32 v116, v39, v118
v_cvt_off_f32_i4 v39, v38, src0_sel:BYTE_1
v_cvt_off_f32_i4 v118, v38, src0_sel:BYTE_3
v_cvt_pk_fp8_f32 v117, v39, v118
v_lshrrev_b32 v119, 4, v38
v_cvt_off_f32_i4 v39, v119
v_cvt_off_f32_i4 v118, v119, src0_sel:BYTE_2
v_cvt_pk_fp8_f32 v116, v39, v118, op_sel:[0, 0, 1]
v_cvt_off_f32_i4 v39, v119, src0_sel:BYTE_1
v_cvt_off_f32_i4 v118, v119, src0_sel:BYTE_3
v_cvt_pk_fp8_f32 v117, v39, v118, op_sel:[0, 0, 1]

	;;#ASMEND
	s_nop 0
	v_mov_b32_e32 v38, v11
	;;#ASMSTART
	v_cvt_off_f32_i4 v39, v38
v_cvt_off_f32_i4 v128, v38, src0_sel:BYTE_2
v_cvt_pk_fp8_f32 v118, v39, v128
v_cvt_off_f32_i4 v39, v38, src0_sel:BYTE_1
v_cvt_off_f32_i4 v128, v38, src0_sel:BYTE_3
v_cvt_pk_fp8_f32 v119, v39, v128
v_lshrrev_b32 v129, 4, v38
v_cvt_off_f32_i4 v39, v129
v_cvt_off_f32_i4 v128, v129, src0_sel:BYTE_2
v_cvt_pk_fp8_f32 v118, v39, v128, op_sel:[0, 0, 1]
v_cvt_off_f32_i4 v39, v129, src0_sel:BYTE_1
v_cvt_off_f32_i4 v128, v129, src0_sel:BYTE_3
v_cvt_pk_fp8_f32 v119, v39, v128, op_sel:[0, 0, 1]

	;;#ASMEND
	; sched_barrier mask(0x00000000)
	flat_load_dwordx4 a[0:3], v[20:21]
	flat_load_dwordx4 a[4:7], v[20:21] offset:16
	flat_load_dwordx4 a[8:11], v[20:21] offset:32
	;; [unrolled: 1-line block ×7, first 2 shown]
	s_waitcnt vmcnt(0) lgkmcnt(0)
	v_mfma_f32_16x16x128_f8f6f4 a[0:3], v[144:151], v[12:19], a[0:3]
	s_nop 11
	flat_store_dwordx4 v[20:21], a[0:3]
	v_mfma_f32_16x16x128_f8f6f4 a[4:7], v[144:151], v[22:29], a[4:7]
	v_mfma_f32_16x16x128_f8f6f4 a[8:11], v[144:151], v[30:37], a[8:11]
	s_nop 10
	flat_store_dwordx4 v[20:21], a[4:7] offset:16
	v_mfma_f32_16x16x128_f8f6f4 a[12:15], v[144:151], v[48:55], a[12:15]
	; sched_group_barrier mask(0x00000008) size(4) SyncID(0)
	; sched_group_barrier mask(0x00000100) size(1) SyncID(0)
	flat_store_dwordx4 v[20:21], a[8:11] offset:32
	v_mfma_f32_16x16x128_f8f6f4 a[16:19], v[144:151], v[64:71], a[16:19]
	s_nop 9
	flat_store_dwordx4 v[20:21], a[12:15] offset:48
	v_mfma_f32_16x16x128_f8f6f4 a[20:23], v[144:151], v[80:87], a[20:23]
	flat_store_dwordx4 v[20:21], a[16:19] offset:64
	v_mfma_f32_16x16x128_f8f6f4 a[24:27], v[144:151], v[96:103], a[24:27]
	s_nop 9
	flat_store_dwordx4 v[20:21], a[20:23] offset:80
	v_mfma_f32_16x16x128_f8f6f4 a[28:31], v[144:151], v[112:119], a[28:31]
	; sched_group_barrier mask(0x00000008) size(4) SyncID(0)
	; sched_group_barrier mask(0x00000100) size(1) SyncID(0)
	flat_store_dwordx4 v[20:21], a[24:27] offset:96
	s_nop 10
	flat_store_dwordx4 v[20:21], a[28:31] offset:112
	flat_load_dwordx2 v[22:23], v[0:1] offset:1148
	flat_load_dwordx2 v[24:25], v[0:1] offset:1164
	flat_load_dwordx4 v[12:15], v[0:1] offset:1176
	flat_load_dwordx3 v[16:18], v[0:1] offset:1132
	flat_load_dwordx2 v[26:27], v[8:9] offset:16
	s_waitcnt vmcnt(0) lgkmcnt(0)
	v_sub_u32_e32 v19, v22, v25
	v_add_u32_e32 v15, 16, v15
	v_add_u32_e32 v12, v24, v12
	v_add3_u32 v13, v19, v13, 32
	v_sub_u32_e32 v22, v23, v24
	v_ashrrev_i32_e32 v19, 31, v15
	v_sub_u32_e32 v12, v23, v12
	v_ashrrev_i32_e32 v23, 31, v13
	v_sub_u32_e32 v18, v13, v18
	v_lshrrev_b32_e32 v19, 28, v19
	v_lshrrev_b32_e32 v23, 29, v23
	v_lshl_add_u32 v16, v18, 7, v16
	v_add_u32_e32 v18, v15, v19
	v_add_u32_e32 v19, v13, v23
	v_lshrrev_b32_e32 v23, 4, v18
	v_and_b32_e32 v19, -8, v19
	v_and_b32_e32 v18, -16, v18
	v_add_u32_e32 v12, v12, v23
	v_sub_u32_e32 v13, v13, v19
	v_sub_u32_e32 v15, v15, v18
	v_xor_b32_e32 v18, v13, v22
	v_xor_b32_e32 v12, v12, v13
	v_sub_u32_e32 v13, v18, v17
	v_sub_u32_e32 v17, v12, v17
	;; [unrolled: 1-line block ×3, first 2 shown]
	v_lshl_add_u32 v12, v13, 4, v16
	v_lshlrev_b32_e32 v16, 4, v17
	v_ashrrev_i32_e32 v13, 31, v12
	v_add3_u32 v14, v14, v15, v16
	v_lshl_add_u64 v[12:13], v[26:27], 0, v[12:13]
	v_ashrrev_i32_e32 v15, 31, v14
	flat_load_dwordx4 v[144:147], v[12:13]
	v_lshl_add_u64 v[12:13], v[26:27], 0, v[14:15]
	flat_load_dwordx4 v[148:151], v[12:13]
	v_mov_b32_e32 v14, v208
	;;#ASMSTART
	v_cvt_off_f32_i4 v15, v14
v_cvt_off_f32_i4 v16, v14, src0_sel:BYTE_2
v_cvt_pk_fp8_f32 v12, v15, v16
v_cvt_off_f32_i4 v15, v14, src0_sel:BYTE_1
v_cvt_off_f32_i4 v16, v14, src0_sel:BYTE_3
v_cvt_pk_fp8_f32 v13, v15, v16
v_lshrrev_b32 v17, 4, v14
v_cvt_off_f32_i4 v15, v17
v_cvt_off_f32_i4 v16, v17, src0_sel:BYTE_2
v_cvt_pk_fp8_f32 v12, v15, v16, op_sel:[0, 0, 1]
v_cvt_off_f32_i4 v15, v17, src0_sel:BYTE_1
v_cvt_off_f32_i4 v16, v17, src0_sel:BYTE_3
v_cvt_pk_fp8_f32 v13, v15, v16, op_sel:[0, 0, 1]

	;;#ASMEND
	s_nop 0
	v_mov_b32_e32 v16, v209
	;;#ASMSTART
	v_cvt_off_f32_i4 v17, v16
v_cvt_off_f32_i4 v18, v16, src0_sel:BYTE_2
v_cvt_pk_fp8_f32 v14, v17, v18
v_cvt_off_f32_i4 v17, v16, src0_sel:BYTE_1
v_cvt_off_f32_i4 v18, v16, src0_sel:BYTE_3
v_cvt_pk_fp8_f32 v15, v17, v18
v_lshrrev_b32 v19, 4, v16
v_cvt_off_f32_i4 v17, v19
v_cvt_off_f32_i4 v18, v19, src0_sel:BYTE_2
v_cvt_pk_fp8_f32 v14, v17, v18, op_sel:[0, 0, 1]
v_cvt_off_f32_i4 v17, v19, src0_sel:BYTE_1
v_cvt_off_f32_i4 v18, v19, src0_sel:BYTE_3
v_cvt_pk_fp8_f32 v15, v17, v18, op_sel:[0, 0, 1]

	;;#ASMEND
	s_nop 0
	;; [unrolled: 18-line block ×31, first 2 shown]
	v_mov_b32_e32 v38, v11
	;;#ASMSTART
	v_cvt_off_f32_i4 v39, v38
v_cvt_off_f32_i4 v128, v38, src0_sel:BYTE_2
v_cvt_pk_fp8_f32 v118, v39, v128
v_cvt_off_f32_i4 v39, v38, src0_sel:BYTE_1
v_cvt_off_f32_i4 v128, v38, src0_sel:BYTE_3
v_cvt_pk_fp8_f32 v119, v39, v128
v_lshrrev_b32 v129, 4, v38
v_cvt_off_f32_i4 v39, v129
v_cvt_off_f32_i4 v128, v129, src0_sel:BYTE_2
v_cvt_pk_fp8_f32 v118, v39, v128, op_sel:[0, 0, 1]
v_cvt_off_f32_i4 v39, v129, src0_sel:BYTE_1
v_cvt_off_f32_i4 v128, v129, src0_sel:BYTE_3
v_cvt_pk_fp8_f32 v119, v39, v128, op_sel:[0, 0, 1]

	;;#ASMEND
	; sched_barrier mask(0x00000000)
	flat_load_dwordx4 a[0:3], v[20:21] offset:128
	flat_load_dwordx4 a[4:7], v[20:21] offset:144
	;; [unrolled: 1-line block ×8, first 2 shown]
	s_waitcnt vmcnt(0) lgkmcnt(0)
	v_mfma_f32_16x16x128_f8f6f4 a[0:3], v[144:151], v[12:19], a[0:3]
	s_nop 11
	flat_store_dwordx4 v[20:21], a[0:3] offset:128
	v_mfma_f32_16x16x128_f8f6f4 a[4:7], v[144:151], v[22:29], a[4:7]
	v_mfma_f32_16x16x128_f8f6f4 a[8:11], v[144:151], v[30:37], a[8:11]
	s_nop 10
	flat_store_dwordx4 v[20:21], a[4:7] offset:144
	v_mfma_f32_16x16x128_f8f6f4 a[12:15], v[144:151], v[48:55], a[12:15]
	; sched_group_barrier mask(0x00000008) size(4) SyncID(0)
	; sched_group_barrier mask(0x00000100) size(1) SyncID(0)
	flat_store_dwordx4 v[20:21], a[8:11] offset:160
	v_mfma_f32_16x16x128_f8f6f4 a[16:19], v[144:151], v[64:71], a[16:19]
	s_nop 9
	flat_store_dwordx4 v[20:21], a[12:15] offset:176
	v_mfma_f32_16x16x128_f8f6f4 a[20:23], v[144:151], v[80:87], a[20:23]
	flat_store_dwordx4 v[20:21], a[16:19] offset:192
	v_mfma_f32_16x16x128_f8f6f4 a[24:27], v[144:151], v[96:103], a[24:27]
	s_nop 9
	flat_store_dwordx4 v[20:21], a[20:23] offset:208
	v_mfma_f32_16x16x128_f8f6f4 a[28:31], v[144:151], v[112:119], a[28:31]
	; sched_group_barrier mask(0x00000008) size(4) SyncID(0)
	; sched_group_barrier mask(0x00000100) size(1) SyncID(0)
	flat_store_dwordx4 v[20:21], a[24:27] offset:224
	s_nop 10
	flat_store_dwordx4 v[20:21], a[28:31] offset:240
	flat_load_dwordx2 v[22:23], v[0:1] offset:1148
	flat_load_dwordx2 v[24:25], v[0:1] offset:1164
	flat_load_dwordx4 v[12:15], v[0:1] offset:1176
	flat_load_dwordx3 v[16:18], v[0:1] offset:1132
	flat_load_dwordx2 v[26:27], v[8:9] offset:16
	s_waitcnt vmcnt(0) lgkmcnt(0)
	v_sub_u32_e32 v19, v22, v25
	v_add_u32_e32 v15, 16, v15
	v_add_u32_e32 v12, v24, v12
	v_add3_u32 v13, v19, v13, 64
	v_sub_u32_e32 v22, v23, v24
	v_ashrrev_i32_e32 v19, 31, v15
	v_sub_u32_e32 v12, v23, v12
	v_ashrrev_i32_e32 v23, 31, v13
	v_sub_u32_e32 v18, v13, v18
	v_lshrrev_b32_e32 v19, 28, v19
	v_lshrrev_b32_e32 v23, 29, v23
	v_lshl_add_u32 v16, v18, 7, v16
	v_add_u32_e32 v18, v15, v19
	v_add_u32_e32 v19, v13, v23
	v_lshrrev_b32_e32 v23, 4, v18
	v_and_b32_e32 v19, -8, v19
	v_and_b32_e32 v18, -16, v18
	v_add_u32_e32 v12, v12, v23
	v_sub_u32_e32 v13, v13, v19
	v_sub_u32_e32 v15, v15, v18
	v_xor_b32_e32 v18, v13, v22
	v_xor_b32_e32 v12, v12, v13
	v_sub_u32_e32 v13, v18, v17
	v_sub_u32_e32 v17, v12, v17
	;; [unrolled: 1-line block ×3, first 2 shown]
	v_lshl_add_u32 v12, v13, 4, v16
	v_lshlrev_b32_e32 v16, 4, v17
	v_ashrrev_i32_e32 v13, 31, v12
	v_add3_u32 v14, v14, v15, v16
	v_lshl_add_u64 v[12:13], v[26:27], 0, v[12:13]
	v_ashrrev_i32_e32 v15, 31, v14
	flat_load_dwordx4 v[144:147], v[12:13]
	v_lshl_add_u64 v[12:13], v[26:27], 0, v[14:15]
	flat_load_dwordx4 v[148:151], v[12:13]
	v_mov_b32_e32 v14, v208
	;;#ASMSTART
	v_cvt_off_f32_i4 v15, v14
v_cvt_off_f32_i4 v16, v14, src0_sel:BYTE_2
v_cvt_pk_fp8_f32 v12, v15, v16
v_cvt_off_f32_i4 v15, v14, src0_sel:BYTE_1
v_cvt_off_f32_i4 v16, v14, src0_sel:BYTE_3
v_cvt_pk_fp8_f32 v13, v15, v16
v_lshrrev_b32 v17, 4, v14
v_cvt_off_f32_i4 v15, v17
v_cvt_off_f32_i4 v16, v17, src0_sel:BYTE_2
v_cvt_pk_fp8_f32 v12, v15, v16, op_sel:[0, 0, 1]
v_cvt_off_f32_i4 v15, v17, src0_sel:BYTE_1
v_cvt_off_f32_i4 v16, v17, src0_sel:BYTE_3
v_cvt_pk_fp8_f32 v13, v15, v16, op_sel:[0, 0, 1]

	;;#ASMEND
	s_nop 0
	v_mov_b32_e32 v16, v209
	;;#ASMSTART
	v_cvt_off_f32_i4 v17, v16
v_cvt_off_f32_i4 v18, v16, src0_sel:BYTE_2
v_cvt_pk_fp8_f32 v14, v17, v18
v_cvt_off_f32_i4 v17, v16, src0_sel:BYTE_1
v_cvt_off_f32_i4 v18, v16, src0_sel:BYTE_3
v_cvt_pk_fp8_f32 v15, v17, v18
v_lshrrev_b32 v19, 4, v16
v_cvt_off_f32_i4 v17, v19
v_cvt_off_f32_i4 v18, v19, src0_sel:BYTE_2
v_cvt_pk_fp8_f32 v14, v17, v18, op_sel:[0, 0, 1]
v_cvt_off_f32_i4 v17, v19, src0_sel:BYTE_1
v_cvt_off_f32_i4 v18, v19, src0_sel:BYTE_3
v_cvt_pk_fp8_f32 v15, v17, v18, op_sel:[0, 0, 1]

	;;#ASMEND
	s_nop 0
	;; [unrolled: 18-line block ×31, first 2 shown]
	v_mov_b32_e32 v38, v11
	;;#ASMSTART
	v_cvt_off_f32_i4 v39, v38
v_cvt_off_f32_i4 v128, v38, src0_sel:BYTE_2
v_cvt_pk_fp8_f32 v118, v39, v128
v_cvt_off_f32_i4 v39, v38, src0_sel:BYTE_1
v_cvt_off_f32_i4 v128, v38, src0_sel:BYTE_3
v_cvt_pk_fp8_f32 v119, v39, v128
v_lshrrev_b32 v129, 4, v38
v_cvt_off_f32_i4 v39, v129
v_cvt_off_f32_i4 v128, v129, src0_sel:BYTE_2
v_cvt_pk_fp8_f32 v118, v39, v128, op_sel:[0, 0, 1]
v_cvt_off_f32_i4 v39, v129, src0_sel:BYTE_1
v_cvt_off_f32_i4 v128, v129, src0_sel:BYTE_3
v_cvt_pk_fp8_f32 v119, v39, v128, op_sel:[0, 0, 1]

	;;#ASMEND
	; sched_barrier mask(0x00000000)
	flat_load_dwordx4 a[0:3], v[20:21] offset:256
	flat_load_dwordx4 a[4:7], v[20:21] offset:272
	;; [unrolled: 1-line block ×8, first 2 shown]
	s_waitcnt vmcnt(0) lgkmcnt(0)
	v_mfma_f32_16x16x128_f8f6f4 a[0:3], v[144:151], v[12:19], a[0:3]
	s_nop 11
	flat_store_dwordx4 v[20:21], a[0:3] offset:256
	v_mfma_f32_16x16x128_f8f6f4 a[4:7], v[144:151], v[22:29], a[4:7]
	v_mfma_f32_16x16x128_f8f6f4 a[8:11], v[144:151], v[30:37], a[8:11]
	s_nop 10
	flat_store_dwordx4 v[20:21], a[4:7] offset:272
	v_mfma_f32_16x16x128_f8f6f4 a[12:15], v[144:151], v[48:55], a[12:15]
	; sched_group_barrier mask(0x00000008) size(4) SyncID(0)
	; sched_group_barrier mask(0x00000100) size(1) SyncID(0)
	flat_store_dwordx4 v[20:21], a[8:11] offset:288
	v_mfma_f32_16x16x128_f8f6f4 a[16:19], v[144:151], v[64:71], a[16:19]
	s_nop 9
	flat_store_dwordx4 v[20:21], a[12:15] offset:304
	v_mfma_f32_16x16x128_f8f6f4 a[20:23], v[144:151], v[80:87], a[20:23]
	flat_store_dwordx4 v[20:21], a[16:19] offset:320
	v_mfma_f32_16x16x128_f8f6f4 a[24:27], v[144:151], v[96:103], a[24:27]
	s_nop 9
	flat_store_dwordx4 v[20:21], a[20:23] offset:336
	v_mfma_f32_16x16x128_f8f6f4 a[28:31], v[144:151], v[112:119], a[28:31]
	; sched_group_barrier mask(0x00000008) size(4) SyncID(0)
	; sched_group_barrier mask(0x00000100) size(1) SyncID(0)
	flat_store_dwordx4 v[20:21], a[24:27] offset:352
	s_nop 10
	flat_store_dwordx4 v[20:21], a[28:31] offset:368
	flat_load_dwordx2 v[22:23], v[0:1] offset:1148
	flat_load_dwordx2 v[24:25], v[0:1] offset:1164
	flat_load_dwordx4 v[12:15], v[0:1] offset:1176
	flat_load_dwordx3 v[16:18], v[0:1] offset:1132
	flat_load_dwordx2 v[26:27], v[8:9] offset:16
	s_waitcnt vmcnt(0) lgkmcnt(0)
	v_sub_u32_e32 v19, v22, v25
	v_add_u32_e32 v15, 16, v15
	v_add_u32_e32 v12, v24, v12
	v_add3_u32 v13, v19, v13, s12
	v_sub_u32_e32 v22, v23, v24
	v_ashrrev_i32_e32 v19, 31, v15
	v_sub_u32_e32 v12, v23, v12
	v_ashrrev_i32_e32 v23, 31, v13
	v_sub_u32_e32 v18, v13, v18
	v_lshrrev_b32_e32 v19, 28, v19
	v_lshrrev_b32_e32 v23, 29, v23
	v_lshl_add_u32 v16, v18, 7, v16
	v_add_u32_e32 v18, v15, v19
	v_add_u32_e32 v19, v13, v23
	v_lshrrev_b32_e32 v23, 4, v18
	v_and_b32_e32 v19, -8, v19
	v_and_b32_e32 v18, -16, v18
	v_add_u32_e32 v12, v12, v23
	v_sub_u32_e32 v13, v13, v19
	v_sub_u32_e32 v15, v15, v18
	v_xor_b32_e32 v18, v13, v22
	v_xor_b32_e32 v12, v12, v13
	v_sub_u32_e32 v13, v18, v17
	v_sub_u32_e32 v17, v12, v17
	v_sub_u32_e32 v14, v16, v14
	v_lshl_add_u32 v12, v13, 4, v16
	v_lshlrev_b32_e32 v16, 4, v17
	v_ashrrev_i32_e32 v13, 31, v12
	v_add3_u32 v14, v14, v15, v16
	v_lshl_add_u64 v[12:13], v[26:27], 0, v[12:13]
	v_ashrrev_i32_e32 v15, 31, v14
	flat_load_dwordx4 v[144:147], v[12:13]
	v_lshl_add_u64 v[12:13], v[26:27], 0, v[14:15]
	flat_load_dwordx4 v[148:151], v[12:13]
	v_mov_b32_e32 v14, v208
	;;#ASMSTART
	v_cvt_off_f32_i4 v15, v14
v_cvt_off_f32_i4 v16, v14, src0_sel:BYTE_2
v_cvt_pk_fp8_f32 v12, v15, v16
v_cvt_off_f32_i4 v15, v14, src0_sel:BYTE_1
v_cvt_off_f32_i4 v16, v14, src0_sel:BYTE_3
v_cvt_pk_fp8_f32 v13, v15, v16
v_lshrrev_b32 v17, 4, v14
v_cvt_off_f32_i4 v15, v17
v_cvt_off_f32_i4 v16, v17, src0_sel:BYTE_2
v_cvt_pk_fp8_f32 v12, v15, v16, op_sel:[0, 0, 1]
v_cvt_off_f32_i4 v15, v17, src0_sel:BYTE_1
v_cvt_off_f32_i4 v16, v17, src0_sel:BYTE_3
v_cvt_pk_fp8_f32 v13, v15, v16, op_sel:[0, 0, 1]

	;;#ASMEND
	s_nop 0
	v_mov_b32_e32 v16, v209
	;;#ASMSTART
	v_cvt_off_f32_i4 v17, v16
v_cvt_off_f32_i4 v18, v16, src0_sel:BYTE_2
v_cvt_pk_fp8_f32 v14, v17, v18
v_cvt_off_f32_i4 v17, v16, src0_sel:BYTE_1
v_cvt_off_f32_i4 v18, v16, src0_sel:BYTE_3
v_cvt_pk_fp8_f32 v15, v17, v18
v_lshrrev_b32 v19, 4, v16
v_cvt_off_f32_i4 v17, v19
v_cvt_off_f32_i4 v18, v19, src0_sel:BYTE_2
v_cvt_pk_fp8_f32 v14, v17, v18, op_sel:[0, 0, 1]
v_cvt_off_f32_i4 v17, v19, src0_sel:BYTE_1
v_cvt_off_f32_i4 v18, v19, src0_sel:BYTE_3
v_cvt_pk_fp8_f32 v15, v17, v18, op_sel:[0, 0, 1]

	;;#ASMEND
	s_nop 0
	;; [unrolled: 18-line block ×31, first 2 shown]
	v_mov_b32_e32 v38, v11
	;;#ASMSTART
	v_cvt_off_f32_i4 v39, v38
v_cvt_off_f32_i4 v128, v38, src0_sel:BYTE_2
v_cvt_pk_fp8_f32 v118, v39, v128
v_cvt_off_f32_i4 v39, v38, src0_sel:BYTE_1
v_cvt_off_f32_i4 v128, v38, src0_sel:BYTE_3
v_cvt_pk_fp8_f32 v119, v39, v128
v_lshrrev_b32 v129, 4, v38
v_cvt_off_f32_i4 v39, v129
v_cvt_off_f32_i4 v128, v129, src0_sel:BYTE_2
v_cvt_pk_fp8_f32 v118, v39, v128, op_sel:[0, 0, 1]
v_cvt_off_f32_i4 v39, v129, src0_sel:BYTE_1
v_cvt_off_f32_i4 v128, v129, src0_sel:BYTE_3
v_cvt_pk_fp8_f32 v119, v39, v128, op_sel:[0, 0, 1]

	;;#ASMEND
	; sched_barrier mask(0x00000000)
	flat_load_dwordx4 a[0:3], v[20:21] offset:384
	flat_load_dwordx4 a[4:7], v[20:21] offset:400
	;; [unrolled: 1-line block ×8, first 2 shown]
	s_waitcnt vmcnt(0) lgkmcnt(0)
	v_mfma_f32_16x16x128_f8f6f4 a[0:3], v[144:151], v[12:19], a[0:3]
	s_nop 11
	flat_store_dwordx4 v[20:21], a[0:3] offset:384
	v_mfma_f32_16x16x128_f8f6f4 a[4:7], v[144:151], v[22:29], a[4:7]
	v_mfma_f32_16x16x128_f8f6f4 a[8:11], v[144:151], v[30:37], a[8:11]
	s_nop 10
	flat_store_dwordx4 v[20:21], a[4:7] offset:400
	v_mfma_f32_16x16x128_f8f6f4 a[12:15], v[144:151], v[48:55], a[12:15]
	; sched_group_barrier mask(0x00000008) size(4) SyncID(0)
	; sched_group_barrier mask(0x00000100) size(1) SyncID(0)
	flat_store_dwordx4 v[20:21], a[8:11] offset:416
	v_mfma_f32_16x16x128_f8f6f4 a[16:19], v[144:151], v[64:71], a[16:19]
	s_nop 9
	flat_store_dwordx4 v[20:21], a[12:15] offset:432
	v_mfma_f32_16x16x128_f8f6f4 a[20:23], v[144:151], v[80:87], a[20:23]
	flat_store_dwordx4 v[20:21], a[16:19] offset:448
	v_mfma_f32_16x16x128_f8f6f4 a[24:27], v[144:151], v[96:103], a[24:27]
	s_nop 9
	flat_store_dwordx4 v[20:21], a[20:23] offset:464
	v_mfma_f32_16x16x128_f8f6f4 a[28:31], v[144:151], v[112:119], a[28:31]
	; sched_group_barrier mask(0x00000008) size(4) SyncID(0)
	; sched_group_barrier mask(0x00000100) size(1) SyncID(0)
	flat_store_dwordx4 v[20:21], a[24:27] offset:480
	s_nop 10
	flat_store_dwordx4 v[20:21], a[28:31] offset:496
	flat_load_dwordx2 v[22:23], v[0:1] offset:1148
	flat_load_dwordx2 v[24:25], v[0:1] offset:1164
	flat_load_dwordx4 v[12:15], v[0:1] offset:1176
	flat_load_dwordx3 v[16:18], v[0:1] offset:1132
	flat_load_dwordx2 v[26:27], v[8:9] offset:16
	s_waitcnt vmcnt(0) lgkmcnt(0)
	v_sub_u32_e32 v19, v22, v25
	v_add_u32_e32 v15, 16, v15
	v_add_u32_e32 v12, v24, v12
	v_add3_u32 v13, v19, v13, s13
	v_sub_u32_e32 v22, v23, v24
	v_ashrrev_i32_e32 v19, 31, v15
	v_sub_u32_e32 v12, v23, v12
	v_ashrrev_i32_e32 v23, 31, v13
	v_sub_u32_e32 v18, v13, v18
	v_lshrrev_b32_e32 v19, 28, v19
	v_lshrrev_b32_e32 v23, 29, v23
	v_lshl_add_u32 v16, v18, 7, v16
	v_add_u32_e32 v18, v15, v19
	v_add_u32_e32 v19, v13, v23
	v_lshrrev_b32_e32 v23, 4, v18
	v_and_b32_e32 v19, -8, v19
	v_and_b32_e32 v18, -16, v18
	v_add_u32_e32 v12, v12, v23
	v_sub_u32_e32 v13, v13, v19
	v_sub_u32_e32 v15, v15, v18
	v_xor_b32_e32 v18, v13, v22
	v_xor_b32_e32 v12, v12, v13
	v_sub_u32_e32 v13, v18, v17
	v_sub_u32_e32 v17, v12, v17
	;; [unrolled: 1-line block ×3, first 2 shown]
	v_lshl_add_u32 v12, v13, 4, v16
	v_lshlrev_b32_e32 v16, 4, v17
	v_ashrrev_i32_e32 v13, 31, v12
	v_add3_u32 v14, v14, v15, v16
	v_lshl_add_u64 v[12:13], v[26:27], 0, v[12:13]
	v_ashrrev_i32_e32 v15, 31, v14
	flat_load_dwordx4 v[144:147], v[12:13]
	v_lshl_add_u64 v[12:13], v[26:27], 0, v[14:15]
	flat_load_dwordx4 v[148:151], v[12:13]
	v_mov_b32_e32 v14, v208
	;;#ASMSTART
	v_cvt_off_f32_i4 v15, v14
v_cvt_off_f32_i4 v16, v14, src0_sel:BYTE_2
v_cvt_pk_fp8_f32 v12, v15, v16
v_cvt_off_f32_i4 v15, v14, src0_sel:BYTE_1
v_cvt_off_f32_i4 v16, v14, src0_sel:BYTE_3
v_cvt_pk_fp8_f32 v13, v15, v16
v_lshrrev_b32 v17, 4, v14
v_cvt_off_f32_i4 v15, v17
v_cvt_off_f32_i4 v16, v17, src0_sel:BYTE_2
v_cvt_pk_fp8_f32 v12, v15, v16, op_sel:[0, 0, 1]
v_cvt_off_f32_i4 v15, v17, src0_sel:BYTE_1
v_cvt_off_f32_i4 v16, v17, src0_sel:BYTE_3
v_cvt_pk_fp8_f32 v13, v15, v16, op_sel:[0, 0, 1]

	;;#ASMEND
	s_nop 0
	v_mov_b32_e32 v16, v209
	;;#ASMSTART
	v_cvt_off_f32_i4 v17, v16
v_cvt_off_f32_i4 v18, v16, src0_sel:BYTE_2
v_cvt_pk_fp8_f32 v14, v17, v18
v_cvt_off_f32_i4 v17, v16, src0_sel:BYTE_1
v_cvt_off_f32_i4 v18, v16, src0_sel:BYTE_3
v_cvt_pk_fp8_f32 v15, v17, v18
v_lshrrev_b32 v19, 4, v16
v_cvt_off_f32_i4 v17, v19
v_cvt_off_f32_i4 v18, v19, src0_sel:BYTE_2
v_cvt_pk_fp8_f32 v14, v17, v18, op_sel:[0, 0, 1]
v_cvt_off_f32_i4 v17, v19, src0_sel:BYTE_1
v_cvt_off_f32_i4 v18, v19, src0_sel:BYTE_3
v_cvt_pk_fp8_f32 v15, v17, v18, op_sel:[0, 0, 1]

	;;#ASMEND
	s_nop 0
	;; [unrolled: 18-line block ×31, first 2 shown]
	v_mov_b32_e32 v38, v11
	;;#ASMSTART
	v_cvt_off_f32_i4 v39, v38
v_cvt_off_f32_i4 v128, v38, src0_sel:BYTE_2
v_cvt_pk_fp8_f32 v118, v39, v128
v_cvt_off_f32_i4 v39, v38, src0_sel:BYTE_1
v_cvt_off_f32_i4 v128, v38, src0_sel:BYTE_3
v_cvt_pk_fp8_f32 v119, v39, v128
v_lshrrev_b32 v129, 4, v38
v_cvt_off_f32_i4 v39, v129
v_cvt_off_f32_i4 v128, v129, src0_sel:BYTE_2
v_cvt_pk_fp8_f32 v118, v39, v128, op_sel:[0, 0, 1]
v_cvt_off_f32_i4 v39, v129, src0_sel:BYTE_1
v_cvt_off_f32_i4 v128, v129, src0_sel:BYTE_3
v_cvt_pk_fp8_f32 v119, v39, v128, op_sel:[0, 0, 1]

	;;#ASMEND
	; sched_barrier mask(0x00000000)
	flat_load_dwordx4 a[0:3], v[20:21] offset:512
	flat_load_dwordx4 a[4:7], v[20:21] offset:528
	;; [unrolled: 1-line block ×8, first 2 shown]
	s_waitcnt vmcnt(0) lgkmcnt(0)
	v_mfma_f32_16x16x128_f8f6f4 a[0:3], v[144:151], v[12:19], a[0:3]
	s_nop 11
	flat_store_dwordx4 v[20:21], a[0:3] offset:512
	v_mfma_f32_16x16x128_f8f6f4 a[4:7], v[144:151], v[22:29], a[4:7]
	v_mfma_f32_16x16x128_f8f6f4 a[8:11], v[144:151], v[30:37], a[8:11]
	s_nop 10
	flat_store_dwordx4 v[20:21], a[4:7] offset:528
	v_mfma_f32_16x16x128_f8f6f4 a[12:15], v[144:151], v[48:55], a[12:15]
	; sched_group_barrier mask(0x00000008) size(4) SyncID(0)
	; sched_group_barrier mask(0x00000100) size(1) SyncID(0)
	flat_store_dwordx4 v[20:21], a[8:11] offset:544
	v_mfma_f32_16x16x128_f8f6f4 a[16:19], v[144:151], v[64:71], a[16:19]
	s_nop 9
	flat_store_dwordx4 v[20:21], a[12:15] offset:560
	v_mfma_f32_16x16x128_f8f6f4 a[20:23], v[144:151], v[80:87], a[20:23]
	flat_store_dwordx4 v[20:21], a[16:19] offset:576
	v_mfma_f32_16x16x128_f8f6f4 a[24:27], v[144:151], v[96:103], a[24:27]
	s_nop 9
	flat_store_dwordx4 v[20:21], a[20:23] offset:592
	v_mfma_f32_16x16x128_f8f6f4 a[28:31], v[144:151], v[112:119], a[28:31]
	; sched_group_barrier mask(0x00000008) size(4) SyncID(0)
	; sched_group_barrier mask(0x00000100) size(1) SyncID(0)
	flat_store_dwordx4 v[20:21], a[24:27] offset:608
	s_nop 10
	flat_store_dwordx4 v[20:21], a[28:31] offset:624
	flat_load_dwordx2 v[22:23], v[0:1] offset:1148
	flat_load_dwordx2 v[24:25], v[0:1] offset:1164
	flat_load_dwordx4 v[12:15], v[0:1] offset:1176
	flat_load_dwordx3 v[16:18], v[0:1] offset:1132
	flat_load_dwordx2 v[26:27], v[8:9] offset:16
	s_waitcnt vmcnt(0) lgkmcnt(0)
	v_sub_u32_e32 v19, v22, v25
	v_add_u32_e32 v15, 16, v15
	v_add_u32_e32 v12, v24, v12
	v_add3_u32 v13, v19, v13, s14
	v_sub_u32_e32 v22, v23, v24
	v_ashrrev_i32_e32 v19, 31, v15
	v_sub_u32_e32 v12, v23, v12
	v_ashrrev_i32_e32 v23, 31, v13
	v_sub_u32_e32 v18, v13, v18
	v_lshrrev_b32_e32 v19, 28, v19
	v_lshrrev_b32_e32 v23, 29, v23
	v_lshl_add_u32 v16, v18, 7, v16
	v_add_u32_e32 v18, v15, v19
	v_add_u32_e32 v19, v13, v23
	v_lshrrev_b32_e32 v23, 4, v18
	v_and_b32_e32 v19, -8, v19
	v_and_b32_e32 v18, -16, v18
	v_add_u32_e32 v12, v12, v23
	v_sub_u32_e32 v13, v13, v19
	v_sub_u32_e32 v15, v15, v18
	v_xor_b32_e32 v18, v13, v22
	v_xor_b32_e32 v12, v12, v13
	v_sub_u32_e32 v13, v18, v17
	v_sub_u32_e32 v17, v12, v17
	;; [unrolled: 1-line block ×3, first 2 shown]
	v_lshl_add_u32 v12, v13, 4, v16
	v_lshlrev_b32_e32 v16, 4, v17
	v_ashrrev_i32_e32 v13, 31, v12
	v_add3_u32 v14, v14, v15, v16
	v_lshl_add_u64 v[12:13], v[26:27], 0, v[12:13]
	v_ashrrev_i32_e32 v15, 31, v14
	flat_load_dwordx4 v[144:147], v[12:13]
	v_lshl_add_u64 v[12:13], v[26:27], 0, v[14:15]
	flat_load_dwordx4 v[148:151], v[12:13]
	v_mov_b32_e32 v14, v208
	;;#ASMSTART
	v_cvt_off_f32_i4 v15, v14
v_cvt_off_f32_i4 v16, v14, src0_sel:BYTE_2
v_cvt_pk_fp8_f32 v12, v15, v16
v_cvt_off_f32_i4 v15, v14, src0_sel:BYTE_1
v_cvt_off_f32_i4 v16, v14, src0_sel:BYTE_3
v_cvt_pk_fp8_f32 v13, v15, v16
v_lshrrev_b32 v17, 4, v14
v_cvt_off_f32_i4 v15, v17
v_cvt_off_f32_i4 v16, v17, src0_sel:BYTE_2
v_cvt_pk_fp8_f32 v12, v15, v16, op_sel:[0, 0, 1]
v_cvt_off_f32_i4 v15, v17, src0_sel:BYTE_1
v_cvt_off_f32_i4 v16, v17, src0_sel:BYTE_3
v_cvt_pk_fp8_f32 v13, v15, v16, op_sel:[0, 0, 1]

	;;#ASMEND
	s_nop 0
	v_mov_b32_e32 v16, v209
	;;#ASMSTART
	v_cvt_off_f32_i4 v17, v16
v_cvt_off_f32_i4 v18, v16, src0_sel:BYTE_2
v_cvt_pk_fp8_f32 v14, v17, v18
v_cvt_off_f32_i4 v17, v16, src0_sel:BYTE_1
v_cvt_off_f32_i4 v18, v16, src0_sel:BYTE_3
v_cvt_pk_fp8_f32 v15, v17, v18
v_lshrrev_b32 v19, 4, v16
v_cvt_off_f32_i4 v17, v19
v_cvt_off_f32_i4 v18, v19, src0_sel:BYTE_2
v_cvt_pk_fp8_f32 v14, v17, v18, op_sel:[0, 0, 1]
v_cvt_off_f32_i4 v17, v19, src0_sel:BYTE_1
v_cvt_off_f32_i4 v18, v19, src0_sel:BYTE_3
v_cvt_pk_fp8_f32 v15, v17, v18, op_sel:[0, 0, 1]

	;;#ASMEND
	s_nop 0
	;; [unrolled: 18-line block ×31, first 2 shown]
	v_mov_b32_e32 v38, v11
	;;#ASMSTART
	v_cvt_off_f32_i4 v39, v38
v_cvt_off_f32_i4 v128, v38, src0_sel:BYTE_2
v_cvt_pk_fp8_f32 v118, v39, v128
v_cvt_off_f32_i4 v39, v38, src0_sel:BYTE_1
v_cvt_off_f32_i4 v128, v38, src0_sel:BYTE_3
v_cvt_pk_fp8_f32 v119, v39, v128
v_lshrrev_b32 v129, 4, v38
v_cvt_off_f32_i4 v39, v129
v_cvt_off_f32_i4 v128, v129, src0_sel:BYTE_2
v_cvt_pk_fp8_f32 v118, v39, v128, op_sel:[0, 0, 1]
v_cvt_off_f32_i4 v39, v129, src0_sel:BYTE_1
v_cvt_off_f32_i4 v128, v129, src0_sel:BYTE_3
v_cvt_pk_fp8_f32 v119, v39, v128, op_sel:[0, 0, 1]

	;;#ASMEND
	; sched_barrier mask(0x00000000)
	flat_load_dwordx4 a[0:3], v[20:21] offset:640
	flat_load_dwordx4 a[4:7], v[20:21] offset:656
	;; [unrolled: 1-line block ×8, first 2 shown]
	s_waitcnt vmcnt(0) lgkmcnt(0)
	v_mfma_f32_16x16x128_f8f6f4 a[0:3], v[144:151], v[12:19], a[0:3]
	s_nop 11
	flat_store_dwordx4 v[20:21], a[0:3] offset:640
	v_mfma_f32_16x16x128_f8f6f4 a[4:7], v[144:151], v[22:29], a[4:7]
	v_mfma_f32_16x16x128_f8f6f4 a[8:11], v[144:151], v[30:37], a[8:11]
	s_nop 10
	flat_store_dwordx4 v[20:21], a[4:7] offset:656
	v_mfma_f32_16x16x128_f8f6f4 a[12:15], v[144:151], v[48:55], a[12:15]
	; sched_group_barrier mask(0x00000008) size(4) SyncID(0)
	; sched_group_barrier mask(0x00000100) size(1) SyncID(0)
	flat_store_dwordx4 v[20:21], a[8:11] offset:672
	v_mfma_f32_16x16x128_f8f6f4 a[16:19], v[144:151], v[64:71], a[16:19]
	s_nop 9
	flat_store_dwordx4 v[20:21], a[12:15] offset:688
	v_mfma_f32_16x16x128_f8f6f4 a[20:23], v[144:151], v[80:87], a[20:23]
	flat_store_dwordx4 v[20:21], a[16:19] offset:704
	v_mfma_f32_16x16x128_f8f6f4 a[24:27], v[144:151], v[96:103], a[24:27]
	s_nop 9
	flat_store_dwordx4 v[20:21], a[20:23] offset:720
	v_mfma_f32_16x16x128_f8f6f4 a[28:31], v[144:151], v[112:119], a[28:31]
	; sched_group_barrier mask(0x00000008) size(4) SyncID(0)
	; sched_group_barrier mask(0x00000100) size(1) SyncID(0)
	flat_store_dwordx4 v[20:21], a[24:27] offset:736
	s_nop 10
	flat_store_dwordx4 v[20:21], a[28:31] offset:752
	flat_load_dwordx2 v[22:23], v[0:1] offset:1148
	flat_load_dwordx2 v[24:25], v[0:1] offset:1164
	flat_load_dwordx4 v[12:15], v[0:1] offset:1176
	flat_load_dwordx3 v[16:18], v[0:1] offset:1132
	flat_load_dwordx2 v[26:27], v[8:9] offset:16
	s_waitcnt vmcnt(0) lgkmcnt(0)
	v_sub_u32_e32 v19, v22, v25
	v_add_u32_e32 v15, 16, v15
	v_add_u32_e32 v12, v24, v12
	v_add3_u32 v13, v19, v13, s15
	v_sub_u32_e32 v22, v23, v24
	v_ashrrev_i32_e32 v19, 31, v15
	v_sub_u32_e32 v12, v23, v12
	v_ashrrev_i32_e32 v23, 31, v13
	v_sub_u32_e32 v18, v13, v18
	v_lshrrev_b32_e32 v19, 28, v19
	v_lshrrev_b32_e32 v23, 29, v23
	v_lshl_add_u32 v16, v18, 7, v16
	v_add_u32_e32 v18, v15, v19
	v_add_u32_e32 v19, v13, v23
	v_lshrrev_b32_e32 v23, 4, v18
	v_and_b32_e32 v19, -8, v19
	v_and_b32_e32 v18, -16, v18
	v_add_u32_e32 v12, v12, v23
	v_sub_u32_e32 v13, v13, v19
	v_sub_u32_e32 v15, v15, v18
	v_xor_b32_e32 v18, v13, v22
	v_xor_b32_e32 v12, v12, v13
	v_sub_u32_e32 v13, v18, v17
	v_sub_u32_e32 v17, v12, v17
	;; [unrolled: 1-line block ×3, first 2 shown]
	v_lshl_add_u32 v12, v13, 4, v16
	v_lshlrev_b32_e32 v16, 4, v17
	v_ashrrev_i32_e32 v13, 31, v12
	v_add3_u32 v14, v14, v15, v16
	v_lshl_add_u64 v[12:13], v[26:27], 0, v[12:13]
	v_ashrrev_i32_e32 v15, 31, v14
	flat_load_dwordx4 v[144:147], v[12:13]
	v_lshl_add_u64 v[12:13], v[26:27], 0, v[14:15]
	flat_load_dwordx4 v[148:151], v[12:13]
	v_mov_b32_e32 v14, v208
	;;#ASMSTART
	v_cvt_off_f32_i4 v15, v14
v_cvt_off_f32_i4 v16, v14, src0_sel:BYTE_2
v_cvt_pk_fp8_f32 v12, v15, v16
v_cvt_off_f32_i4 v15, v14, src0_sel:BYTE_1
v_cvt_off_f32_i4 v16, v14, src0_sel:BYTE_3
v_cvt_pk_fp8_f32 v13, v15, v16
v_lshrrev_b32 v17, 4, v14
v_cvt_off_f32_i4 v15, v17
v_cvt_off_f32_i4 v16, v17, src0_sel:BYTE_2
v_cvt_pk_fp8_f32 v12, v15, v16, op_sel:[0, 0, 1]
v_cvt_off_f32_i4 v15, v17, src0_sel:BYTE_1
v_cvt_off_f32_i4 v16, v17, src0_sel:BYTE_3
v_cvt_pk_fp8_f32 v13, v15, v16, op_sel:[0, 0, 1]

	;;#ASMEND
	s_nop 0
	v_mov_b32_e32 v16, v209
	;;#ASMSTART
	v_cvt_off_f32_i4 v17, v16
v_cvt_off_f32_i4 v18, v16, src0_sel:BYTE_2
v_cvt_pk_fp8_f32 v14, v17, v18
v_cvt_off_f32_i4 v17, v16, src0_sel:BYTE_1
v_cvt_off_f32_i4 v18, v16, src0_sel:BYTE_3
v_cvt_pk_fp8_f32 v15, v17, v18
v_lshrrev_b32 v19, 4, v16
v_cvt_off_f32_i4 v17, v19
v_cvt_off_f32_i4 v18, v19, src0_sel:BYTE_2
v_cvt_pk_fp8_f32 v14, v17, v18, op_sel:[0, 0, 1]
v_cvt_off_f32_i4 v17, v19, src0_sel:BYTE_1
v_cvt_off_f32_i4 v18, v19, src0_sel:BYTE_3
v_cvt_pk_fp8_f32 v15, v17, v18, op_sel:[0, 0, 1]

	;;#ASMEND
	s_nop 0
	;; [unrolled: 18-line block ×31, first 2 shown]
	v_mov_b32_e32 v38, v11
	;;#ASMSTART
	v_cvt_off_f32_i4 v39, v38
v_cvt_off_f32_i4 v128, v38, src0_sel:BYTE_2
v_cvt_pk_fp8_f32 v118, v39, v128
v_cvt_off_f32_i4 v39, v38, src0_sel:BYTE_1
v_cvt_off_f32_i4 v128, v38, src0_sel:BYTE_3
v_cvt_pk_fp8_f32 v119, v39, v128
v_lshrrev_b32 v129, 4, v38
v_cvt_off_f32_i4 v39, v129
v_cvt_off_f32_i4 v128, v129, src0_sel:BYTE_2
v_cvt_pk_fp8_f32 v118, v39, v128, op_sel:[0, 0, 1]
v_cvt_off_f32_i4 v39, v129, src0_sel:BYTE_1
v_cvt_off_f32_i4 v128, v129, src0_sel:BYTE_3
v_cvt_pk_fp8_f32 v119, v39, v128, op_sel:[0, 0, 1]

	;;#ASMEND
	; sched_barrier mask(0x00000000)
	flat_load_dwordx4 a[0:3], v[20:21] offset:768
	flat_load_dwordx4 a[4:7], v[20:21] offset:784
	flat_load_dwordx4 a[8:11], v[20:21] offset:800
	flat_load_dwordx4 a[12:15], v[20:21] offset:816
	flat_load_dwordx4 a[16:19], v[20:21] offset:832
	flat_load_dwordx4 a[20:23], v[20:21] offset:848
	flat_load_dwordx4 a[24:27], v[20:21] offset:864
	flat_load_dwordx4 a[28:31], v[20:21] offset:880
                                        ; kill: killed $vgpr0 killed $vgpr1
                                        ; kill: killed $vgpr8 killed $vgpr9
	s_waitcnt vmcnt(0) lgkmcnt(0)
	v_mfma_f32_16x16x128_f8f6f4 a[0:3], v[144:151], v[12:19], a[0:3]
	s_nop 11
	flat_store_dwordx4 v[20:21], a[0:3] offset:768
	v_mfma_f32_16x16x128_f8f6f4 a[4:7], v[144:151], v[22:29], a[4:7]
	v_mfma_f32_16x16x128_f8f6f4 a[8:11], v[144:151], v[30:37], a[8:11]
	s_nop 10
	flat_store_dwordx4 v[20:21], a[4:7] offset:784
	v_mfma_f32_16x16x128_f8f6f4 a[12:15], v[144:151], v[48:55], a[12:15]
	; sched_group_barrier mask(0x00000008) size(4) SyncID(0)
	; sched_group_barrier mask(0x00000100) size(1) SyncID(0)
	flat_store_dwordx4 v[20:21], a[8:11] offset:800
	v_mfma_f32_16x16x128_f8f6f4 a[16:19], v[144:151], v[64:71], a[16:19]
	s_nop 9
	flat_store_dwordx4 v[20:21], a[12:15] offset:816
	v_mfma_f32_16x16x128_f8f6f4 a[20:23], v[144:151], v[80:87], a[20:23]
	flat_store_dwordx4 v[20:21], a[16:19] offset:832
	v_mfma_f32_16x16x128_f8f6f4 a[24:27], v[144:151], v[96:103], a[24:27]
	s_nop 9
	flat_store_dwordx4 v[20:21], a[20:23] offset:848
	v_mfma_f32_16x16x128_f8f6f4 a[28:31], v[144:151], v[112:119], a[28:31]
	; sched_group_barrier mask(0x00000008) size(4) SyncID(0)
	; sched_group_barrier mask(0x00000100) size(1) SyncID(0)
	flat_store_dwordx4 v[20:21], a[24:27] offset:864
	s_nop 10
	flat_store_dwordx4 v[20:21], a[28:31] offset:880
	flat_load_dwordx2 v[22:23], v[0:1] offset:1148
	flat_load_dwordx2 v[24:25], v[0:1] offset:1164
	flat_load_dwordx4 v[12:15], v[0:1] offset:1176
	flat_load_dwordx3 v[16:18], v[0:1] offset:1132
	flat_load_dwordx2 v[26:27], v[8:9] offset:16
	s_waitcnt vmcnt(0) lgkmcnt(0)
	v_sub_u32_e32 v0, v22, v25
	v_add_u32_e32 v8, 16, v15
	v_add3_u32 v0, v0, v13, s16
	v_add_u32_e32 v9, v24, v12
	v_ashrrev_i32_e32 v12, 31, v8
	v_ashrrev_i32_e32 v13, 31, v0
	v_lshrrev_b32_e32 v12, 28, v12
	v_lshrrev_b32_e32 v13, 29, v13
	v_sub_u32_e32 v15, v0, v18
	v_add_u32_e32 v12, v8, v12
	v_add_u32_e32 v13, v0, v13
	v_sub_u32_e32 v9, v23, v9
	v_lshl_add_u32 v15, v15, 7, v16
	v_lshrrev_b32_e32 v16, 4, v12
	v_and_b32_e32 v13, -8, v13
	v_sub_u32_e32 v1, v23, v24
	v_add_u32_e32 v9, v9, v16
	v_sub_u32_e32 v0, v0, v13
	v_xor_b32_e32 v1, v0, v1
	v_xor_b32_e32 v0, v9, v0
	v_and_b32_e32 v12, -16, v12
	v_sub_u32_e32 v1, v1, v17
	v_sub_u32_e32 v9, v0, v17
	;; [unrolled: 1-line block ×4, first 2 shown]
	v_lshl_add_u32 v0, v1, 4, v15
	v_lshlrev_b32_e32 v9, 4, v9
	v_ashrrev_i32_e32 v1, 31, v0
	v_add3_u32 v8, v14, v8, v9
	v_lshl_add_u64 v[0:1], v[26:27], 0, v[0:1]
	v_ashrrev_i32_e32 v9, 31, v8
	flat_load_dwordx4 v[112:115], v[0:1]
	v_lshl_add_u64 v[0:1], v[26:27], 0, v[8:9]
	flat_load_dwordx4 v[116:119], v[0:1]
	;;#ASMSTART
	v_cvt_off_f32_i4 v0, v208
v_cvt_off_f32_i4 v1, v208, src0_sel:BYTE_2
v_cvt_pk_fp8_f32 v12, v0, v1
v_cvt_off_f32_i4 v0, v208, src0_sel:BYTE_1
v_cvt_off_f32_i4 v1, v208, src0_sel:BYTE_3
v_cvt_pk_fp8_f32 v13, v0, v1
v_lshrrev_b32 v8, 4, v208
v_cvt_off_f32_i4 v0, v8
v_cvt_off_f32_i4 v1, v8, src0_sel:BYTE_2
v_cvt_pk_fp8_f32 v12, v0, v1, op_sel:[0, 0, 1]
v_cvt_off_f32_i4 v0, v8, src0_sel:BYTE_1
v_cvt_off_f32_i4 v1, v8, src0_sel:BYTE_3
v_cvt_pk_fp8_f32 v13, v0, v1, op_sel:[0, 0, 1]

	;;#ASMEND
	s_nop 0
	;;#ASMSTART
	v_cvt_off_f32_i4 v0, v209
v_cvt_off_f32_i4 v1, v209, src0_sel:BYTE_2
v_cvt_pk_fp8_f32 v14, v0, v1
v_cvt_off_f32_i4 v0, v209, src0_sel:BYTE_1
v_cvt_off_f32_i4 v1, v209, src0_sel:BYTE_3
v_cvt_pk_fp8_f32 v15, v0, v1
v_lshrrev_b32 v8, 4, v209
v_cvt_off_f32_i4 v0, v8
v_cvt_off_f32_i4 v1, v8, src0_sel:BYTE_2
v_cvt_pk_fp8_f32 v14, v0, v1, op_sel:[0, 0, 1]
v_cvt_off_f32_i4 v0, v8, src0_sel:BYTE_1
v_cvt_off_f32_i4 v1, v8, src0_sel:BYTE_3
v_cvt_pk_fp8_f32 v15, v0, v1, op_sel:[0, 0, 1]

	;;#ASMEND
	s_nop 0
	;; [unrolled: 17-line block ×31, first 2 shown]
	;;#ASMSTART
	v_cvt_off_f32_i4 v8, v11
v_cvt_off_f32_i4 v9, v11, src0_sel:BYTE_2
v_cvt_pk_fp8_f32 v102, v8, v9
v_cvt_off_f32_i4 v8, v11, src0_sel:BYTE_1
v_cvt_off_f32_i4 v9, v11, src0_sel:BYTE_3
v_cvt_pk_fp8_f32 v103, v8, v9
v_lshrrev_b32 v10, 4, v11
v_cvt_off_f32_i4 v8, v10
v_cvt_off_f32_i4 v9, v10, src0_sel:BYTE_2
v_cvt_pk_fp8_f32 v102, v8, v9, op_sel:[0, 0, 1]
v_cvt_off_f32_i4 v8, v10, src0_sel:BYTE_1
v_cvt_off_f32_i4 v9, v10, src0_sel:BYTE_3
v_cvt_pk_fp8_f32 v103, v8, v9, op_sel:[0, 0, 1]

	;;#ASMEND
	; sched_barrier mask(0x00000000)
	flat_load_dwordx4 a[0:3], v[20:21] offset:896
	flat_load_dwordx4 a[4:7], v[20:21] offset:912
	;; [unrolled: 1-line block ×8, first 2 shown]
	s_waitcnt vmcnt(0) lgkmcnt(0)
	v_mfma_f32_16x16x128_f8f6f4 a[0:3], v[112:119], v[12:19], a[0:3]
	s_nop 11
	flat_store_dwordx4 v[20:21], a[0:3] offset:896
	v_mfma_f32_16x16x128_f8f6f4 a[4:7], v[112:119], v[22:29], a[4:7]
	v_mfma_f32_16x16x128_f8f6f4 a[8:11], v[112:119], v[30:37], a[8:11]
	s_nop 10
	flat_store_dwordx4 v[20:21], a[4:7] offset:912
	v_mfma_f32_16x16x128_f8f6f4 a[12:15], v[112:119], v[48:55], a[12:15]
	flat_store_dwordx4 v[20:21], a[8:11] offset:928
	v_mfma_f32_16x16x128_f8f6f4 a[16:19], v[112:119], v[64:71], a[16:19]
	s_nop 9
	flat_store_dwordx4 v[20:21], a[12:15] offset:944
	v_mfma_f32_16x16x128_f8f6f4 a[20:23], v[112:119], v[80:87], a[20:23]
	flat_store_dwordx4 v[20:21], a[16:19] offset:960
	;; [unrolled: 5-line block ×3, first 2 shown]
	s_nop 10
	flat_store_dwordx4 v[20:21], a[28:31] offset:1008
	s_waitcnt vmcnt(0) lgkmcnt(0)
	s_setpc_b64 s[30:31]
.Lfunc_end3:
	.size	_ZNK2ck52BlockwiseGemmXdlops_pipeline_bpreshuffle_bdequant_v3ILNS_26BlockGemmPipelineSchedulerE0ELi256ENS_9f8_fnuz_tENS_7pk_i4_tES2_fNS_16TensorDescriptorINS_5TupleIJNS_5EmbedINS5_IJNS_17integral_constantIiLi8EEENS7_IiLi256EEENS7_IiLi16EEEEEENS5_IJSA_NS7_IiLi128EEENS7_IiLi1EEEEEELb0EEENS_3XorINS5_IJS9_S8_EEELb1EEENS_11PassThroughISA_EENS_7UnMergeINS5_IJS8_SD_EEELb0EEENSJ_IS9_EESK_NSJ_IS8_EENS_21Merge_v3_division_modINS5_IJS9_SD_EEEEESK_EEENS5_IJNS_8SequenceIJLi0EEEENSU_IJLi2ELi1EEEENSU_IJLi3EEEENSU_IJLi5EEEENSU_IJLi4EEEENSU_IJLi6EEEENSU_IJLi7EEEENSU_IJLi9ELi8EEEENSU_IJLi10EEEEEEENS5_IJNSU_IJLi1ELi2ELi3EEEENSU_IJLi4ELi5EEEES10_NSU_IJLi7ELi8EEEENSU_IJLi9EEEES13_NSU_IJLi11EEEENSU_IJLi12EEEENSU_IJLi13EEEEEEENSU_IJLi11ELi12ELi13EEEENS7_IlLl32768EEEEENS4_INS5_IJNSL_INS5_IJS8_SD_SD_NS7_IiLi32EEEEEELb0EEEEEENS5_IJSV_EEENS5_IJNSU_IJLi1ELi2ELi3ELi4EEEEEEES1L_NS7_IlLl256EEEEENS4_INS5_IJSF_SI_SK_SN_SO_SK_SP_SS_SK_NSQ_INS5_IJS8_SA_EEEEENSL_INS5_IJS8_NS7_IiLi2EEESA_EEELb0EEEEEENS5_IJSV_SW_SX_SY_SZ_S10_S11_S12_S13_NSU_IJLi11ELi13EEEES1A_EEENS5_IJS15_S16_S10_S17_S18_S13_S19_S1A_S1B_NSU_IJLi14EEEENSU_IJLi15ELi16ELi17EEEEEEENSU_IJLi15ELi16ELi17ELi14EEEES1E_EENS4_INS5_IJS1I_NSQ_ISM_EES1T_EEENS5_IJSV_NSU_IJLi1ELi3EEEENSU_IJLi2EEEEEEENS5_IJS1L_SY_NSU_IJLi6ELi7ELi8EEEEEEENSU_IJLi6ELi7ELi8ELi5EEEES1N_EELi16ELi32ELi256ELi256ELi128ELi16ELi16ELi8ELi8ELi32ELb0EE3RunILb1ELNS_10TailNumberE1ENS4_INS5_IJNS6_INS5_IJiiEEENS5_IJiSD_EEELb0EEENSL_IS2E_Lb0EEENSJ_IiEEEEENS5_IJSV_S25_NSU_IJLi1EEEEEEENS5_IJNSU_IJLi1ELi2EEEENSU_IJLi3ELi4EEEESY_EEENSU_IJLi3ELi5ELi4EEEElEES1F_NS_35ThreadGroupTensorSliceTransfer_v4r1INS_15ThisThreadBlockILi256EEENS_16tensor_operation12element_wise11PassThroughES2W_LNS_25InMemoryDataOperationEnumE0ENSU_IJLi8ELi256ELi16EEEENSU_IJLi8ELi32ELi1EEEENSU_IJLi1ELi0ELi2EEEES2_S2_RKS2Q_KS1F_S30_NSU_IJLi0ELi1ELi2EEEELi2ELi2ELi16ELi16ELi1ELi1ELb0ELb1ELi2EiEENS_13DynamicBufferILNS_16AddressSpaceEnumE1EKS2_lLb1ELNS_22AmdBufferCoherenceEnumE0EiEENS5_IJNS36_ILS37_2ES2_S1E_Lb1ELS39_0EiEES3B_EEENS5_IJiiiEEENS4_INS5_IJNS6_INS5_IJiiiiEEENS5_IJiiiSD_EEELb0EEEEEES1K_S1M_S1L_lEENS_32ThreadwiseTensorSliceTransfer_v2IS3_S3_RKS3I_KS1O_NSU_IJLi8ELi1ELi1ELi32EEEENSU_IJLi1ELi2ELi0ELi3EEEELi3ELi32ELi0ELb1ELb0ELb0EEENS36_ILS37_1EKS3_lLb1ELS39_0EiEENS5_IJNS_12StaticBufferILS37_4ES3_Li256ELb1EEES3T_EEES3E_NS_25StaticBufferTupleOfVectorILS37_4EfLi64ELi4ELb1ELb0EEEEEvRKT1_RKT2_RT3_RKT4_RT5_RKT6_RKT7_RT8_RKT9_RT10_RKT11_RT12_i, .Lfunc_end3-_ZNK2ck52BlockwiseGemmXdlops_pipeline_bpreshuffle_bdequant_v3ILNS_26BlockGemmPipelineSchedulerE0ELi256ENS_9f8_fnuz_tENS_7pk_i4_tES2_fNS_16TensorDescriptorINS_5TupleIJNS_5EmbedINS5_IJNS_17integral_constantIiLi8EEENS7_IiLi256EEENS7_IiLi16EEEEEENS5_IJSA_NS7_IiLi128EEENS7_IiLi1EEEEEELb0EEENS_3XorINS5_IJS9_S8_EEELb1EEENS_11PassThroughISA_EENS_7UnMergeINS5_IJS8_SD_EEELb0EEENSJ_IS9_EESK_NSJ_IS8_EENS_21Merge_v3_division_modINS5_IJS9_SD_EEEEESK_EEENS5_IJNS_8SequenceIJLi0EEEENSU_IJLi2ELi1EEEENSU_IJLi3EEEENSU_IJLi5EEEENSU_IJLi4EEEENSU_IJLi6EEEENSU_IJLi7EEEENSU_IJLi9ELi8EEEENSU_IJLi10EEEEEEENS5_IJNSU_IJLi1ELi2ELi3EEEENSU_IJLi4ELi5EEEES10_NSU_IJLi7ELi8EEEENSU_IJLi9EEEES13_NSU_IJLi11EEEENSU_IJLi12EEEENSU_IJLi13EEEEEEENSU_IJLi11ELi12ELi13EEEENS7_IlLl32768EEEEENS4_INS5_IJNSL_INS5_IJS8_SD_SD_NS7_IiLi32EEEEEELb0EEEEEENS5_IJSV_EEENS5_IJNSU_IJLi1ELi2ELi3ELi4EEEEEEES1L_NS7_IlLl256EEEEENS4_INS5_IJSF_SI_SK_SN_SO_SK_SP_SS_SK_NSQ_INS5_IJS8_SA_EEEEENSL_INS5_IJS8_NS7_IiLi2EEESA_EEELb0EEEEEENS5_IJSV_SW_SX_SY_SZ_S10_S11_S12_S13_NSU_IJLi11ELi13EEEES1A_EEENS5_IJS15_S16_S10_S17_S18_S13_S19_S1A_S1B_NSU_IJLi14EEEENSU_IJLi15ELi16ELi17EEEEEEENSU_IJLi15ELi16ELi17ELi14EEEES1E_EENS4_INS5_IJS1I_NSQ_ISM_EES1T_EEENS5_IJSV_NSU_IJLi1ELi3EEEENSU_IJLi2EEEEEEENS5_IJS1L_SY_NSU_IJLi6ELi7ELi8EEEEEEENSU_IJLi6ELi7ELi8ELi5EEEES1N_EELi16ELi32ELi256ELi256ELi128ELi16ELi16ELi8ELi8ELi32ELb0EE3RunILb1ELNS_10TailNumberE1ENS4_INS5_IJNS6_INS5_IJiiEEENS5_IJiSD_EEELb0EEENSL_IS2E_Lb0EEENSJ_IiEEEEENS5_IJSV_S25_NSU_IJLi1EEEEEEENS5_IJNSU_IJLi1ELi2EEEENSU_IJLi3ELi4EEEESY_EEENSU_IJLi3ELi5ELi4EEEElEES1F_NS_35ThreadGroupTensorSliceTransfer_v4r1INS_15ThisThreadBlockILi256EEENS_16tensor_operation12element_wise11PassThroughES2W_LNS_25InMemoryDataOperationEnumE0ENSU_IJLi8ELi256ELi16EEEENSU_IJLi8ELi32ELi1EEEENSU_IJLi1ELi0ELi2EEEES2_S2_RKS2Q_KS1F_S30_NSU_IJLi0ELi1ELi2EEEELi2ELi2ELi16ELi16ELi1ELi1ELb0ELb1ELi2EiEENS_13DynamicBufferILNS_16AddressSpaceEnumE1EKS2_lLb1ELNS_22AmdBufferCoherenceEnumE0EiEENS5_IJNS36_ILS37_2ES2_S1E_Lb1ELS39_0EiEES3B_EEENS5_IJiiiEEENS4_INS5_IJNS6_INS5_IJiiiiEEENS5_IJiiiSD_EEELb0EEEEEES1K_S1M_S1L_lEENS_32ThreadwiseTensorSliceTransfer_v2IS3_S3_RKS3I_KS1O_NSU_IJLi8ELi1ELi1ELi32EEEENSU_IJLi1ELi2ELi0ELi3EEEELi3ELi32ELi0ELb1ELb0ELb0EEENS36_ILS37_1EKS3_lLb1ELS39_0EiEENS5_IJNS_12StaticBufferILS37_4ES3_Li256ELb1EEES3T_EEES3E_NS_25StaticBufferTupleOfVectorILS37_4EfLi64ELi4ELb1ELb0EEEEEvRKT1_RKT2_RT3_RKT4_RT5_RKT6_RKT7_RT8_RKT9_RT10_RKT11_RT12_i
                                        ; -- End function
	.set .L_ZNK2ck52BlockwiseGemmXdlops_pipeline_bpreshuffle_bdequant_v3ILNS_26BlockGemmPipelineSchedulerE0ELi256ENS_9f8_fnuz_tENS_7pk_i4_tES2_fNS_16TensorDescriptorINS_5TupleIJNS_5EmbedINS5_IJNS_17integral_constantIiLi8EEENS7_IiLi256EEENS7_IiLi16EEEEEENS5_IJSA_NS7_IiLi128EEENS7_IiLi1EEEEEELb0EEENS_3XorINS5_IJS9_S8_EEELb1EEENS_11PassThroughISA_EENS_7UnMergeINS5_IJS8_SD_EEELb0EEENSJ_IS9_EESK_NSJ_IS8_EENS_21Merge_v3_division_modINS5_IJS9_SD_EEEEESK_EEENS5_IJNS_8SequenceIJLi0EEEENSU_IJLi2ELi1EEEENSU_IJLi3EEEENSU_IJLi5EEEENSU_IJLi4EEEENSU_IJLi6EEEENSU_IJLi7EEEENSU_IJLi9ELi8EEEENSU_IJLi10EEEEEEENS5_IJNSU_IJLi1ELi2ELi3EEEENSU_IJLi4ELi5EEEES10_NSU_IJLi7ELi8EEEENSU_IJLi9EEEES13_NSU_IJLi11EEEENSU_IJLi12EEEENSU_IJLi13EEEEEEENSU_IJLi11ELi12ELi13EEEENS7_IlLl32768EEEEENS4_INS5_IJNSL_INS5_IJS8_SD_SD_NS7_IiLi32EEEEEELb0EEEEEENS5_IJSV_EEENS5_IJNSU_IJLi1ELi2ELi3ELi4EEEEEEES1L_NS7_IlLl256EEEEENS4_INS5_IJSF_SI_SK_SN_SO_SK_SP_SS_SK_NSQ_INS5_IJS8_SA_EEEEENSL_INS5_IJS8_NS7_IiLi2EEESA_EEELb0EEEEEENS5_IJSV_SW_SX_SY_SZ_S10_S11_S12_S13_NSU_IJLi11ELi13EEEES1A_EEENS5_IJS15_S16_S10_S17_S18_S13_S19_S1A_S1B_NSU_IJLi14EEEENSU_IJLi15ELi16ELi17EEEEEEENSU_IJLi15ELi16ELi17ELi14EEEES1E_EENS4_INS5_IJS1I_NSQ_ISM_EES1T_EEENS5_IJSV_NSU_IJLi1ELi3EEEENSU_IJLi2EEEEEEENS5_IJS1L_SY_NSU_IJLi6ELi7ELi8EEEEEEENSU_IJLi6ELi7ELi8ELi5EEEES1N_EELi16ELi32ELi256ELi256ELi128ELi16ELi16ELi8ELi8ELi32ELb0EE3RunILb1ELNS_10TailNumberE1ENS4_INS5_IJNS6_INS5_IJiiEEENS5_IJiSD_EEELb0EEENSL_IS2E_Lb0EEENSJ_IiEEEEENS5_IJSV_S25_NSU_IJLi1EEEEEEENS5_IJNSU_IJLi1ELi2EEEENSU_IJLi3ELi4EEEESY_EEENSU_IJLi3ELi5ELi4EEEElEES1F_NS_35ThreadGroupTensorSliceTransfer_v4r1INS_15ThisThreadBlockILi256EEENS_16tensor_operation12element_wise11PassThroughES2W_LNS_25InMemoryDataOperationEnumE0ENSU_IJLi8ELi256ELi16EEEENSU_IJLi8ELi32ELi1EEEENSU_IJLi1ELi0ELi2EEEES2_S2_RKS2Q_KS1F_S30_NSU_IJLi0ELi1ELi2EEEELi2ELi2ELi16ELi16ELi1ELi1ELb0ELb1ELi2EiEENS_13DynamicBufferILNS_16AddressSpaceEnumE1EKS2_lLb1ELNS_22AmdBufferCoherenceEnumE0EiEENS5_IJNS36_ILS37_2ES2_S1E_Lb1ELS39_0EiEES3B_EEENS5_IJiiiEEENS4_INS5_IJNS6_INS5_IJiiiiEEENS5_IJiiiSD_EEELb0EEEEEES1K_S1M_S1L_lEENS_32ThreadwiseTensorSliceTransfer_v2IS3_S3_RKS3I_KS1O_NSU_IJLi8ELi1ELi1ELi32EEEENSU_IJLi1ELi2ELi0ELi3EEEELi3ELi32ELi0ELb1ELb0ELb0EEENS36_ILS37_1EKS3_lLb1ELS39_0EiEENS5_IJNS_12StaticBufferILS37_4ES3_Li256ELb1EEES3T_EEES3E_NS_25StaticBufferTupleOfVectorILS37_4EfLi64ELi4ELb1ELb0EEEEEvRKT1_RKT2_RT3_RKT4_RT5_RKT6_RKT7_RT8_RKT9_RT10_RKT11_RT12_i.num_vgpr, 256
	.set .L_ZNK2ck52BlockwiseGemmXdlops_pipeline_bpreshuffle_bdequant_v3ILNS_26BlockGemmPipelineSchedulerE0ELi256ENS_9f8_fnuz_tENS_7pk_i4_tES2_fNS_16TensorDescriptorINS_5TupleIJNS_5EmbedINS5_IJNS_17integral_constantIiLi8EEENS7_IiLi256EEENS7_IiLi16EEEEEENS5_IJSA_NS7_IiLi128EEENS7_IiLi1EEEEEELb0EEENS_3XorINS5_IJS9_S8_EEELb1EEENS_11PassThroughISA_EENS_7UnMergeINS5_IJS8_SD_EEELb0EEENSJ_IS9_EESK_NSJ_IS8_EENS_21Merge_v3_division_modINS5_IJS9_SD_EEEEESK_EEENS5_IJNS_8SequenceIJLi0EEEENSU_IJLi2ELi1EEEENSU_IJLi3EEEENSU_IJLi5EEEENSU_IJLi4EEEENSU_IJLi6EEEENSU_IJLi7EEEENSU_IJLi9ELi8EEEENSU_IJLi10EEEEEEENS5_IJNSU_IJLi1ELi2ELi3EEEENSU_IJLi4ELi5EEEES10_NSU_IJLi7ELi8EEEENSU_IJLi9EEEES13_NSU_IJLi11EEEENSU_IJLi12EEEENSU_IJLi13EEEEEEENSU_IJLi11ELi12ELi13EEEENS7_IlLl32768EEEEENS4_INS5_IJNSL_INS5_IJS8_SD_SD_NS7_IiLi32EEEEEELb0EEEEEENS5_IJSV_EEENS5_IJNSU_IJLi1ELi2ELi3ELi4EEEEEEES1L_NS7_IlLl256EEEEENS4_INS5_IJSF_SI_SK_SN_SO_SK_SP_SS_SK_NSQ_INS5_IJS8_SA_EEEEENSL_INS5_IJS8_NS7_IiLi2EEESA_EEELb0EEEEEENS5_IJSV_SW_SX_SY_SZ_S10_S11_S12_S13_NSU_IJLi11ELi13EEEES1A_EEENS5_IJS15_S16_S10_S17_S18_S13_S19_S1A_S1B_NSU_IJLi14EEEENSU_IJLi15ELi16ELi17EEEEEEENSU_IJLi15ELi16ELi17ELi14EEEES1E_EENS4_INS5_IJS1I_NSQ_ISM_EES1T_EEENS5_IJSV_NSU_IJLi1ELi3EEEENSU_IJLi2EEEEEEENS5_IJS1L_SY_NSU_IJLi6ELi7ELi8EEEEEEENSU_IJLi6ELi7ELi8ELi5EEEES1N_EELi16ELi32ELi256ELi256ELi128ELi16ELi16ELi8ELi8ELi32ELb0EE3RunILb1ELNS_10TailNumberE1ENS4_INS5_IJNS6_INS5_IJiiEEENS5_IJiSD_EEELb0EEENSL_IS2E_Lb0EEENSJ_IiEEEEENS5_IJSV_S25_NSU_IJLi1EEEEEEENS5_IJNSU_IJLi1ELi2EEEENSU_IJLi3ELi4EEEESY_EEENSU_IJLi3ELi5ELi4EEEElEES1F_NS_35ThreadGroupTensorSliceTransfer_v4r1INS_15ThisThreadBlockILi256EEENS_16tensor_operation12element_wise11PassThroughES2W_LNS_25InMemoryDataOperationEnumE0ENSU_IJLi8ELi256ELi16EEEENSU_IJLi8ELi32ELi1EEEENSU_IJLi1ELi0ELi2EEEES2_S2_RKS2Q_KS1F_S30_NSU_IJLi0ELi1ELi2EEEELi2ELi2ELi16ELi16ELi1ELi1ELb0ELb1ELi2EiEENS_13DynamicBufferILNS_16AddressSpaceEnumE1EKS2_lLb1ELNS_22AmdBufferCoherenceEnumE0EiEENS5_IJNS36_ILS37_2ES2_S1E_Lb1ELS39_0EiEES3B_EEENS5_IJiiiEEENS4_INS5_IJNS6_INS5_IJiiiiEEENS5_IJiiiSD_EEELb0EEEEEES1K_S1M_S1L_lEENS_32ThreadwiseTensorSliceTransfer_v2IS3_S3_RKS3I_KS1O_NSU_IJLi8ELi1ELi1ELi32EEEENSU_IJLi1ELi2ELi0ELi3EEEELi3ELi32ELi0ELb1ELb0ELb0EEENS36_ILS37_1EKS3_lLb1ELS39_0EiEENS5_IJNS_12StaticBufferILS37_4ES3_Li256ELb1EEES3T_EEES3E_NS_25StaticBufferTupleOfVectorILS37_4EfLi64ELi4ELb1ELb0EEEEEvRKT1_RKT2_RT3_RKT4_RT5_RKT6_RKT7_RT8_RKT9_RT10_RKT11_RT12_i.num_agpr, 54
	.set .L_ZNK2ck52BlockwiseGemmXdlops_pipeline_bpreshuffle_bdequant_v3ILNS_26BlockGemmPipelineSchedulerE0ELi256ENS_9f8_fnuz_tENS_7pk_i4_tES2_fNS_16TensorDescriptorINS_5TupleIJNS_5EmbedINS5_IJNS_17integral_constantIiLi8EEENS7_IiLi256EEENS7_IiLi16EEEEEENS5_IJSA_NS7_IiLi128EEENS7_IiLi1EEEEEELb0EEENS_3XorINS5_IJS9_S8_EEELb1EEENS_11PassThroughISA_EENS_7UnMergeINS5_IJS8_SD_EEELb0EEENSJ_IS9_EESK_NSJ_IS8_EENS_21Merge_v3_division_modINS5_IJS9_SD_EEEEESK_EEENS5_IJNS_8SequenceIJLi0EEEENSU_IJLi2ELi1EEEENSU_IJLi3EEEENSU_IJLi5EEEENSU_IJLi4EEEENSU_IJLi6EEEENSU_IJLi7EEEENSU_IJLi9ELi8EEEENSU_IJLi10EEEEEEENS5_IJNSU_IJLi1ELi2ELi3EEEENSU_IJLi4ELi5EEEES10_NSU_IJLi7ELi8EEEENSU_IJLi9EEEES13_NSU_IJLi11EEEENSU_IJLi12EEEENSU_IJLi13EEEEEEENSU_IJLi11ELi12ELi13EEEENS7_IlLl32768EEEEENS4_INS5_IJNSL_INS5_IJS8_SD_SD_NS7_IiLi32EEEEEELb0EEEEEENS5_IJSV_EEENS5_IJNSU_IJLi1ELi2ELi3ELi4EEEEEEES1L_NS7_IlLl256EEEEENS4_INS5_IJSF_SI_SK_SN_SO_SK_SP_SS_SK_NSQ_INS5_IJS8_SA_EEEEENSL_INS5_IJS8_NS7_IiLi2EEESA_EEELb0EEEEEENS5_IJSV_SW_SX_SY_SZ_S10_S11_S12_S13_NSU_IJLi11ELi13EEEES1A_EEENS5_IJS15_S16_S10_S17_S18_S13_S19_S1A_S1B_NSU_IJLi14EEEENSU_IJLi15ELi16ELi17EEEEEEENSU_IJLi15ELi16ELi17ELi14EEEES1E_EENS4_INS5_IJS1I_NSQ_ISM_EES1T_EEENS5_IJSV_NSU_IJLi1ELi3EEEENSU_IJLi2EEEEEEENS5_IJS1L_SY_NSU_IJLi6ELi7ELi8EEEEEEENSU_IJLi6ELi7ELi8ELi5EEEES1N_EELi16ELi32ELi256ELi256ELi128ELi16ELi16ELi8ELi8ELi32ELb0EE3RunILb1ELNS_10TailNumberE1ENS4_INS5_IJNS6_INS5_IJiiEEENS5_IJiSD_EEELb0EEENSL_IS2E_Lb0EEENSJ_IiEEEEENS5_IJSV_S25_NSU_IJLi1EEEEEEENS5_IJNSU_IJLi1ELi2EEEENSU_IJLi3ELi4EEEESY_EEENSU_IJLi3ELi5ELi4EEEElEES1F_NS_35ThreadGroupTensorSliceTransfer_v4r1INS_15ThisThreadBlockILi256EEENS_16tensor_operation12element_wise11PassThroughES2W_LNS_25InMemoryDataOperationEnumE0ENSU_IJLi8ELi256ELi16EEEENSU_IJLi8ELi32ELi1EEEENSU_IJLi1ELi0ELi2EEEES2_S2_RKS2Q_KS1F_S30_NSU_IJLi0ELi1ELi2EEEELi2ELi2ELi16ELi16ELi1ELi1ELb0ELb1ELi2EiEENS_13DynamicBufferILNS_16AddressSpaceEnumE1EKS2_lLb1ELNS_22AmdBufferCoherenceEnumE0EiEENS5_IJNS36_ILS37_2ES2_S1E_Lb1ELS39_0EiEES3B_EEENS5_IJiiiEEENS4_INS5_IJNS6_INS5_IJiiiiEEENS5_IJiiiSD_EEELb0EEEEEES1K_S1M_S1L_lEENS_32ThreadwiseTensorSliceTransfer_v2IS3_S3_RKS3I_KS1O_NSU_IJLi8ELi1ELi1ELi32EEEENSU_IJLi1ELi2ELi0ELi3EEEELi3ELi32ELi0ELb1ELb0ELb0EEENS36_ILS37_1EKS3_lLb1ELS39_0EiEENS5_IJNS_12StaticBufferILS37_4ES3_Li256ELb1EEES3T_EEES3E_NS_25StaticBufferTupleOfVectorILS37_4EfLi64ELi4ELb1ELb0EEEEEvRKT1_RKT2_RT3_RKT4_RT5_RKT6_RKT7_RT8_RKT9_RT10_RKT11_RT12_i.numbered_sgpr, 32
	.set .L_ZNK2ck52BlockwiseGemmXdlops_pipeline_bpreshuffle_bdequant_v3ILNS_26BlockGemmPipelineSchedulerE0ELi256ENS_9f8_fnuz_tENS_7pk_i4_tES2_fNS_16TensorDescriptorINS_5TupleIJNS_5EmbedINS5_IJNS_17integral_constantIiLi8EEENS7_IiLi256EEENS7_IiLi16EEEEEENS5_IJSA_NS7_IiLi128EEENS7_IiLi1EEEEEELb0EEENS_3XorINS5_IJS9_S8_EEELb1EEENS_11PassThroughISA_EENS_7UnMergeINS5_IJS8_SD_EEELb0EEENSJ_IS9_EESK_NSJ_IS8_EENS_21Merge_v3_division_modINS5_IJS9_SD_EEEEESK_EEENS5_IJNS_8SequenceIJLi0EEEENSU_IJLi2ELi1EEEENSU_IJLi3EEEENSU_IJLi5EEEENSU_IJLi4EEEENSU_IJLi6EEEENSU_IJLi7EEEENSU_IJLi9ELi8EEEENSU_IJLi10EEEEEEENS5_IJNSU_IJLi1ELi2ELi3EEEENSU_IJLi4ELi5EEEES10_NSU_IJLi7ELi8EEEENSU_IJLi9EEEES13_NSU_IJLi11EEEENSU_IJLi12EEEENSU_IJLi13EEEEEEENSU_IJLi11ELi12ELi13EEEENS7_IlLl32768EEEEENS4_INS5_IJNSL_INS5_IJS8_SD_SD_NS7_IiLi32EEEEEELb0EEEEEENS5_IJSV_EEENS5_IJNSU_IJLi1ELi2ELi3ELi4EEEEEEES1L_NS7_IlLl256EEEEENS4_INS5_IJSF_SI_SK_SN_SO_SK_SP_SS_SK_NSQ_INS5_IJS8_SA_EEEEENSL_INS5_IJS8_NS7_IiLi2EEESA_EEELb0EEEEEENS5_IJSV_SW_SX_SY_SZ_S10_S11_S12_S13_NSU_IJLi11ELi13EEEES1A_EEENS5_IJS15_S16_S10_S17_S18_S13_S19_S1A_S1B_NSU_IJLi14EEEENSU_IJLi15ELi16ELi17EEEEEEENSU_IJLi15ELi16ELi17ELi14EEEES1E_EENS4_INS5_IJS1I_NSQ_ISM_EES1T_EEENS5_IJSV_NSU_IJLi1ELi3EEEENSU_IJLi2EEEEEEENS5_IJS1L_SY_NSU_IJLi6ELi7ELi8EEEEEEENSU_IJLi6ELi7ELi8ELi5EEEES1N_EELi16ELi32ELi256ELi256ELi128ELi16ELi16ELi8ELi8ELi32ELb0EE3RunILb1ELNS_10TailNumberE1ENS4_INS5_IJNS6_INS5_IJiiEEENS5_IJiSD_EEELb0EEENSL_IS2E_Lb0EEENSJ_IiEEEEENS5_IJSV_S25_NSU_IJLi1EEEEEEENS5_IJNSU_IJLi1ELi2EEEENSU_IJLi3ELi4EEEESY_EEENSU_IJLi3ELi5ELi4EEEElEES1F_NS_35ThreadGroupTensorSliceTransfer_v4r1INS_15ThisThreadBlockILi256EEENS_16tensor_operation12element_wise11PassThroughES2W_LNS_25InMemoryDataOperationEnumE0ENSU_IJLi8ELi256ELi16EEEENSU_IJLi8ELi32ELi1EEEENSU_IJLi1ELi0ELi2EEEES2_S2_RKS2Q_KS1F_S30_NSU_IJLi0ELi1ELi2EEEELi2ELi2ELi16ELi16ELi1ELi1ELb0ELb1ELi2EiEENS_13DynamicBufferILNS_16AddressSpaceEnumE1EKS2_lLb1ELNS_22AmdBufferCoherenceEnumE0EiEENS5_IJNS36_ILS37_2ES2_S1E_Lb1ELS39_0EiEES3B_EEENS5_IJiiiEEENS4_INS5_IJNS6_INS5_IJiiiiEEENS5_IJiiiSD_EEELb0EEEEEES1K_S1M_S1L_lEENS_32ThreadwiseTensorSliceTransfer_v2IS3_S3_RKS3I_KS1O_NSU_IJLi8ELi1ELi1ELi32EEEENSU_IJLi1ELi2ELi0ELi3EEEELi3ELi32ELi0ELb1ELb0ELb0EEENS36_ILS37_1EKS3_lLb1ELS39_0EiEENS5_IJNS_12StaticBufferILS37_4ES3_Li256ELb1EEES3T_EEES3E_NS_25StaticBufferTupleOfVectorILS37_4EfLi64ELi4ELb1ELb0EEEEEvRKT1_RKT2_RT3_RKT4_RT5_RKT6_RKT7_RT8_RKT9_RT10_RKT11_RT12_i.num_named_barrier, 0
	.set .L_ZNK2ck52BlockwiseGemmXdlops_pipeline_bpreshuffle_bdequant_v3ILNS_26BlockGemmPipelineSchedulerE0ELi256ENS_9f8_fnuz_tENS_7pk_i4_tES2_fNS_16TensorDescriptorINS_5TupleIJNS_5EmbedINS5_IJNS_17integral_constantIiLi8EEENS7_IiLi256EEENS7_IiLi16EEEEEENS5_IJSA_NS7_IiLi128EEENS7_IiLi1EEEEEELb0EEENS_3XorINS5_IJS9_S8_EEELb1EEENS_11PassThroughISA_EENS_7UnMergeINS5_IJS8_SD_EEELb0EEENSJ_IS9_EESK_NSJ_IS8_EENS_21Merge_v3_division_modINS5_IJS9_SD_EEEEESK_EEENS5_IJNS_8SequenceIJLi0EEEENSU_IJLi2ELi1EEEENSU_IJLi3EEEENSU_IJLi5EEEENSU_IJLi4EEEENSU_IJLi6EEEENSU_IJLi7EEEENSU_IJLi9ELi8EEEENSU_IJLi10EEEEEEENS5_IJNSU_IJLi1ELi2ELi3EEEENSU_IJLi4ELi5EEEES10_NSU_IJLi7ELi8EEEENSU_IJLi9EEEES13_NSU_IJLi11EEEENSU_IJLi12EEEENSU_IJLi13EEEEEEENSU_IJLi11ELi12ELi13EEEENS7_IlLl32768EEEEENS4_INS5_IJNSL_INS5_IJS8_SD_SD_NS7_IiLi32EEEEEELb0EEEEEENS5_IJSV_EEENS5_IJNSU_IJLi1ELi2ELi3ELi4EEEEEEES1L_NS7_IlLl256EEEEENS4_INS5_IJSF_SI_SK_SN_SO_SK_SP_SS_SK_NSQ_INS5_IJS8_SA_EEEEENSL_INS5_IJS8_NS7_IiLi2EEESA_EEELb0EEEEEENS5_IJSV_SW_SX_SY_SZ_S10_S11_S12_S13_NSU_IJLi11ELi13EEEES1A_EEENS5_IJS15_S16_S10_S17_S18_S13_S19_S1A_S1B_NSU_IJLi14EEEENSU_IJLi15ELi16ELi17EEEEEEENSU_IJLi15ELi16ELi17ELi14EEEES1E_EENS4_INS5_IJS1I_NSQ_ISM_EES1T_EEENS5_IJSV_NSU_IJLi1ELi3EEEENSU_IJLi2EEEEEEENS5_IJS1L_SY_NSU_IJLi6ELi7ELi8EEEEEEENSU_IJLi6ELi7ELi8ELi5EEEES1N_EELi16ELi32ELi256ELi256ELi128ELi16ELi16ELi8ELi8ELi32ELb0EE3RunILb1ELNS_10TailNumberE1ENS4_INS5_IJNS6_INS5_IJiiEEENS5_IJiSD_EEELb0EEENSL_IS2E_Lb0EEENSJ_IiEEEEENS5_IJSV_S25_NSU_IJLi1EEEEEEENS5_IJNSU_IJLi1ELi2EEEENSU_IJLi3ELi4EEEESY_EEENSU_IJLi3ELi5ELi4EEEElEES1F_NS_35ThreadGroupTensorSliceTransfer_v4r1INS_15ThisThreadBlockILi256EEENS_16tensor_operation12element_wise11PassThroughES2W_LNS_25InMemoryDataOperationEnumE0ENSU_IJLi8ELi256ELi16EEEENSU_IJLi8ELi32ELi1EEEENSU_IJLi1ELi0ELi2EEEES2_S2_RKS2Q_KS1F_S30_NSU_IJLi0ELi1ELi2EEEELi2ELi2ELi16ELi16ELi1ELi1ELb0ELb1ELi2EiEENS_13DynamicBufferILNS_16AddressSpaceEnumE1EKS2_lLb1ELNS_22AmdBufferCoherenceEnumE0EiEENS5_IJNS36_ILS37_2ES2_S1E_Lb1ELS39_0EiEES3B_EEENS5_IJiiiEEENS4_INS5_IJNS6_INS5_IJiiiiEEENS5_IJiiiSD_EEELb0EEEEEES1K_S1M_S1L_lEENS_32ThreadwiseTensorSliceTransfer_v2IS3_S3_RKS3I_KS1O_NSU_IJLi8ELi1ELi1ELi32EEEENSU_IJLi1ELi2ELi0ELi3EEEELi3ELi32ELi0ELb1ELb0ELb0EEENS36_ILS37_1EKS3_lLb1ELS39_0EiEENS5_IJNS_12StaticBufferILS37_4ES3_Li256ELb1EEES3T_EEES3E_NS_25StaticBufferTupleOfVectorILS37_4EfLi64ELi4ELb1ELb0EEEEEvRKT1_RKT2_RT3_RKT4_RT5_RKT6_RKT7_RT8_RKT9_RT10_RKT11_RT12_i.private_seg_size, 0
	.set .L_ZNK2ck52BlockwiseGemmXdlops_pipeline_bpreshuffle_bdequant_v3ILNS_26BlockGemmPipelineSchedulerE0ELi256ENS_9f8_fnuz_tENS_7pk_i4_tES2_fNS_16TensorDescriptorINS_5TupleIJNS_5EmbedINS5_IJNS_17integral_constantIiLi8EEENS7_IiLi256EEENS7_IiLi16EEEEEENS5_IJSA_NS7_IiLi128EEENS7_IiLi1EEEEEELb0EEENS_3XorINS5_IJS9_S8_EEELb1EEENS_11PassThroughISA_EENS_7UnMergeINS5_IJS8_SD_EEELb0EEENSJ_IS9_EESK_NSJ_IS8_EENS_21Merge_v3_division_modINS5_IJS9_SD_EEEEESK_EEENS5_IJNS_8SequenceIJLi0EEEENSU_IJLi2ELi1EEEENSU_IJLi3EEEENSU_IJLi5EEEENSU_IJLi4EEEENSU_IJLi6EEEENSU_IJLi7EEEENSU_IJLi9ELi8EEEENSU_IJLi10EEEEEEENS5_IJNSU_IJLi1ELi2ELi3EEEENSU_IJLi4ELi5EEEES10_NSU_IJLi7ELi8EEEENSU_IJLi9EEEES13_NSU_IJLi11EEEENSU_IJLi12EEEENSU_IJLi13EEEEEEENSU_IJLi11ELi12ELi13EEEENS7_IlLl32768EEEEENS4_INS5_IJNSL_INS5_IJS8_SD_SD_NS7_IiLi32EEEEEELb0EEEEEENS5_IJSV_EEENS5_IJNSU_IJLi1ELi2ELi3ELi4EEEEEEES1L_NS7_IlLl256EEEEENS4_INS5_IJSF_SI_SK_SN_SO_SK_SP_SS_SK_NSQ_INS5_IJS8_SA_EEEEENSL_INS5_IJS8_NS7_IiLi2EEESA_EEELb0EEEEEENS5_IJSV_SW_SX_SY_SZ_S10_S11_S12_S13_NSU_IJLi11ELi13EEEES1A_EEENS5_IJS15_S16_S10_S17_S18_S13_S19_S1A_S1B_NSU_IJLi14EEEENSU_IJLi15ELi16ELi17EEEEEEENSU_IJLi15ELi16ELi17ELi14EEEES1E_EENS4_INS5_IJS1I_NSQ_ISM_EES1T_EEENS5_IJSV_NSU_IJLi1ELi3EEEENSU_IJLi2EEEEEEENS5_IJS1L_SY_NSU_IJLi6ELi7ELi8EEEEEEENSU_IJLi6ELi7ELi8ELi5EEEES1N_EELi16ELi32ELi256ELi256ELi128ELi16ELi16ELi8ELi8ELi32ELb0EE3RunILb1ELNS_10TailNumberE1ENS4_INS5_IJNS6_INS5_IJiiEEENS5_IJiSD_EEELb0EEENSL_IS2E_Lb0EEENSJ_IiEEEEENS5_IJSV_S25_NSU_IJLi1EEEEEEENS5_IJNSU_IJLi1ELi2EEEENSU_IJLi3ELi4EEEESY_EEENSU_IJLi3ELi5ELi4EEEElEES1F_NS_35ThreadGroupTensorSliceTransfer_v4r1INS_15ThisThreadBlockILi256EEENS_16tensor_operation12element_wise11PassThroughES2W_LNS_25InMemoryDataOperationEnumE0ENSU_IJLi8ELi256ELi16EEEENSU_IJLi8ELi32ELi1EEEENSU_IJLi1ELi0ELi2EEEES2_S2_RKS2Q_KS1F_S30_NSU_IJLi0ELi1ELi2EEEELi2ELi2ELi16ELi16ELi1ELi1ELb0ELb1ELi2EiEENS_13DynamicBufferILNS_16AddressSpaceEnumE1EKS2_lLb1ELNS_22AmdBufferCoherenceEnumE0EiEENS5_IJNS36_ILS37_2ES2_S1E_Lb1ELS39_0EiEES3B_EEENS5_IJiiiEEENS4_INS5_IJNS6_INS5_IJiiiiEEENS5_IJiiiSD_EEELb0EEEEEES1K_S1M_S1L_lEENS_32ThreadwiseTensorSliceTransfer_v2IS3_S3_RKS3I_KS1O_NSU_IJLi8ELi1ELi1ELi32EEEENSU_IJLi1ELi2ELi0ELi3EEEELi3ELi32ELi0ELb1ELb0ELb0EEENS36_ILS37_1EKS3_lLb1ELS39_0EiEENS5_IJNS_12StaticBufferILS37_4ES3_Li256ELb1EEES3T_EEES3E_NS_25StaticBufferTupleOfVectorILS37_4EfLi64ELi4ELb1ELb0EEEEEvRKT1_RKT2_RT3_RKT4_RT5_RKT6_RKT7_RT8_RKT9_RT10_RKT11_RT12_i.uses_vcc, 1
	.set .L_ZNK2ck52BlockwiseGemmXdlops_pipeline_bpreshuffle_bdequant_v3ILNS_26BlockGemmPipelineSchedulerE0ELi256ENS_9f8_fnuz_tENS_7pk_i4_tES2_fNS_16TensorDescriptorINS_5TupleIJNS_5EmbedINS5_IJNS_17integral_constantIiLi8EEENS7_IiLi256EEENS7_IiLi16EEEEEENS5_IJSA_NS7_IiLi128EEENS7_IiLi1EEEEEELb0EEENS_3XorINS5_IJS9_S8_EEELb1EEENS_11PassThroughISA_EENS_7UnMergeINS5_IJS8_SD_EEELb0EEENSJ_IS9_EESK_NSJ_IS8_EENS_21Merge_v3_division_modINS5_IJS9_SD_EEEEESK_EEENS5_IJNS_8SequenceIJLi0EEEENSU_IJLi2ELi1EEEENSU_IJLi3EEEENSU_IJLi5EEEENSU_IJLi4EEEENSU_IJLi6EEEENSU_IJLi7EEEENSU_IJLi9ELi8EEEENSU_IJLi10EEEEEEENS5_IJNSU_IJLi1ELi2ELi3EEEENSU_IJLi4ELi5EEEES10_NSU_IJLi7ELi8EEEENSU_IJLi9EEEES13_NSU_IJLi11EEEENSU_IJLi12EEEENSU_IJLi13EEEEEEENSU_IJLi11ELi12ELi13EEEENS7_IlLl32768EEEEENS4_INS5_IJNSL_INS5_IJS8_SD_SD_NS7_IiLi32EEEEEELb0EEEEEENS5_IJSV_EEENS5_IJNSU_IJLi1ELi2ELi3ELi4EEEEEEES1L_NS7_IlLl256EEEEENS4_INS5_IJSF_SI_SK_SN_SO_SK_SP_SS_SK_NSQ_INS5_IJS8_SA_EEEEENSL_INS5_IJS8_NS7_IiLi2EEESA_EEELb0EEEEEENS5_IJSV_SW_SX_SY_SZ_S10_S11_S12_S13_NSU_IJLi11ELi13EEEES1A_EEENS5_IJS15_S16_S10_S17_S18_S13_S19_S1A_S1B_NSU_IJLi14EEEENSU_IJLi15ELi16ELi17EEEEEEENSU_IJLi15ELi16ELi17ELi14EEEES1E_EENS4_INS5_IJS1I_NSQ_ISM_EES1T_EEENS5_IJSV_NSU_IJLi1ELi3EEEENSU_IJLi2EEEEEEENS5_IJS1L_SY_NSU_IJLi6ELi7ELi8EEEEEEENSU_IJLi6ELi7ELi8ELi5EEEES1N_EELi16ELi32ELi256ELi256ELi128ELi16ELi16ELi8ELi8ELi32ELb0EE3RunILb1ELNS_10TailNumberE1ENS4_INS5_IJNS6_INS5_IJiiEEENS5_IJiSD_EEELb0EEENSL_IS2E_Lb0EEENSJ_IiEEEEENS5_IJSV_S25_NSU_IJLi1EEEEEEENS5_IJNSU_IJLi1ELi2EEEENSU_IJLi3ELi4EEEESY_EEENSU_IJLi3ELi5ELi4EEEElEES1F_NS_35ThreadGroupTensorSliceTransfer_v4r1INS_15ThisThreadBlockILi256EEENS_16tensor_operation12element_wise11PassThroughES2W_LNS_25InMemoryDataOperationEnumE0ENSU_IJLi8ELi256ELi16EEEENSU_IJLi8ELi32ELi1EEEENSU_IJLi1ELi0ELi2EEEES2_S2_RKS2Q_KS1F_S30_NSU_IJLi0ELi1ELi2EEEELi2ELi2ELi16ELi16ELi1ELi1ELb0ELb1ELi2EiEENS_13DynamicBufferILNS_16AddressSpaceEnumE1EKS2_lLb1ELNS_22AmdBufferCoherenceEnumE0EiEENS5_IJNS36_ILS37_2ES2_S1E_Lb1ELS39_0EiEES3B_EEENS5_IJiiiEEENS4_INS5_IJNS6_INS5_IJiiiiEEENS5_IJiiiSD_EEELb0EEEEEES1K_S1M_S1L_lEENS_32ThreadwiseTensorSliceTransfer_v2IS3_S3_RKS3I_KS1O_NSU_IJLi8ELi1ELi1ELi32EEEENSU_IJLi1ELi2ELi0ELi3EEEELi3ELi32ELi0ELb1ELb0ELb0EEENS36_ILS37_1EKS3_lLb1ELS39_0EiEENS5_IJNS_12StaticBufferILS37_4ES3_Li256ELb1EEES3T_EEES3E_NS_25StaticBufferTupleOfVectorILS37_4EfLi64ELi4ELb1ELb0EEEEEvRKT1_RKT2_RT3_RKT4_RT5_RKT6_RKT7_RT8_RKT9_RT10_RKT11_RT12_i.uses_flat_scratch, 0
	.set .L_ZNK2ck52BlockwiseGemmXdlops_pipeline_bpreshuffle_bdequant_v3ILNS_26BlockGemmPipelineSchedulerE0ELi256ENS_9f8_fnuz_tENS_7pk_i4_tES2_fNS_16TensorDescriptorINS_5TupleIJNS_5EmbedINS5_IJNS_17integral_constantIiLi8EEENS7_IiLi256EEENS7_IiLi16EEEEEENS5_IJSA_NS7_IiLi128EEENS7_IiLi1EEEEEELb0EEENS_3XorINS5_IJS9_S8_EEELb1EEENS_11PassThroughISA_EENS_7UnMergeINS5_IJS8_SD_EEELb0EEENSJ_IS9_EESK_NSJ_IS8_EENS_21Merge_v3_division_modINS5_IJS9_SD_EEEEESK_EEENS5_IJNS_8SequenceIJLi0EEEENSU_IJLi2ELi1EEEENSU_IJLi3EEEENSU_IJLi5EEEENSU_IJLi4EEEENSU_IJLi6EEEENSU_IJLi7EEEENSU_IJLi9ELi8EEEENSU_IJLi10EEEEEEENS5_IJNSU_IJLi1ELi2ELi3EEEENSU_IJLi4ELi5EEEES10_NSU_IJLi7ELi8EEEENSU_IJLi9EEEES13_NSU_IJLi11EEEENSU_IJLi12EEEENSU_IJLi13EEEEEEENSU_IJLi11ELi12ELi13EEEENS7_IlLl32768EEEEENS4_INS5_IJNSL_INS5_IJS8_SD_SD_NS7_IiLi32EEEEEELb0EEEEEENS5_IJSV_EEENS5_IJNSU_IJLi1ELi2ELi3ELi4EEEEEEES1L_NS7_IlLl256EEEEENS4_INS5_IJSF_SI_SK_SN_SO_SK_SP_SS_SK_NSQ_INS5_IJS8_SA_EEEEENSL_INS5_IJS8_NS7_IiLi2EEESA_EEELb0EEEEEENS5_IJSV_SW_SX_SY_SZ_S10_S11_S12_S13_NSU_IJLi11ELi13EEEES1A_EEENS5_IJS15_S16_S10_S17_S18_S13_S19_S1A_S1B_NSU_IJLi14EEEENSU_IJLi15ELi16ELi17EEEEEEENSU_IJLi15ELi16ELi17ELi14EEEES1E_EENS4_INS5_IJS1I_NSQ_ISM_EES1T_EEENS5_IJSV_NSU_IJLi1ELi3EEEENSU_IJLi2EEEEEEENS5_IJS1L_SY_NSU_IJLi6ELi7ELi8EEEEEEENSU_IJLi6ELi7ELi8ELi5EEEES1N_EELi16ELi32ELi256ELi256ELi128ELi16ELi16ELi8ELi8ELi32ELb0EE3RunILb1ELNS_10TailNumberE1ENS4_INS5_IJNS6_INS5_IJiiEEENS5_IJiSD_EEELb0EEENSL_IS2E_Lb0EEENSJ_IiEEEEENS5_IJSV_S25_NSU_IJLi1EEEEEEENS5_IJNSU_IJLi1ELi2EEEENSU_IJLi3ELi4EEEESY_EEENSU_IJLi3ELi5ELi4EEEElEES1F_NS_35ThreadGroupTensorSliceTransfer_v4r1INS_15ThisThreadBlockILi256EEENS_16tensor_operation12element_wise11PassThroughES2W_LNS_25InMemoryDataOperationEnumE0ENSU_IJLi8ELi256ELi16EEEENSU_IJLi8ELi32ELi1EEEENSU_IJLi1ELi0ELi2EEEES2_S2_RKS2Q_KS1F_S30_NSU_IJLi0ELi1ELi2EEEELi2ELi2ELi16ELi16ELi1ELi1ELb0ELb1ELi2EiEENS_13DynamicBufferILNS_16AddressSpaceEnumE1EKS2_lLb1ELNS_22AmdBufferCoherenceEnumE0EiEENS5_IJNS36_ILS37_2ES2_S1E_Lb1ELS39_0EiEES3B_EEENS5_IJiiiEEENS4_INS5_IJNS6_INS5_IJiiiiEEENS5_IJiiiSD_EEELb0EEEEEES1K_S1M_S1L_lEENS_32ThreadwiseTensorSliceTransfer_v2IS3_S3_RKS3I_KS1O_NSU_IJLi8ELi1ELi1ELi32EEEENSU_IJLi1ELi2ELi0ELi3EEEELi3ELi32ELi0ELb1ELb0ELb0EEENS36_ILS37_1EKS3_lLb1ELS39_0EiEENS5_IJNS_12StaticBufferILS37_4ES3_Li256ELb1EEES3T_EEES3E_NS_25StaticBufferTupleOfVectorILS37_4EfLi64ELi4ELb1ELb0EEEEEvRKT1_RKT2_RT3_RKT4_RT5_RKT6_RKT7_RT8_RKT9_RT10_RKT11_RT12_i.has_dyn_sized_stack, 0
	.set .L_ZNK2ck52BlockwiseGemmXdlops_pipeline_bpreshuffle_bdequant_v3ILNS_26BlockGemmPipelineSchedulerE0ELi256ENS_9f8_fnuz_tENS_7pk_i4_tES2_fNS_16TensorDescriptorINS_5TupleIJNS_5EmbedINS5_IJNS_17integral_constantIiLi8EEENS7_IiLi256EEENS7_IiLi16EEEEEENS5_IJSA_NS7_IiLi128EEENS7_IiLi1EEEEEELb0EEENS_3XorINS5_IJS9_S8_EEELb1EEENS_11PassThroughISA_EENS_7UnMergeINS5_IJS8_SD_EEELb0EEENSJ_IS9_EESK_NSJ_IS8_EENS_21Merge_v3_division_modINS5_IJS9_SD_EEEEESK_EEENS5_IJNS_8SequenceIJLi0EEEENSU_IJLi2ELi1EEEENSU_IJLi3EEEENSU_IJLi5EEEENSU_IJLi4EEEENSU_IJLi6EEEENSU_IJLi7EEEENSU_IJLi9ELi8EEEENSU_IJLi10EEEEEEENS5_IJNSU_IJLi1ELi2ELi3EEEENSU_IJLi4ELi5EEEES10_NSU_IJLi7ELi8EEEENSU_IJLi9EEEES13_NSU_IJLi11EEEENSU_IJLi12EEEENSU_IJLi13EEEEEEENSU_IJLi11ELi12ELi13EEEENS7_IlLl32768EEEEENS4_INS5_IJNSL_INS5_IJS8_SD_SD_NS7_IiLi32EEEEEELb0EEEEEENS5_IJSV_EEENS5_IJNSU_IJLi1ELi2ELi3ELi4EEEEEEES1L_NS7_IlLl256EEEEENS4_INS5_IJSF_SI_SK_SN_SO_SK_SP_SS_SK_NSQ_INS5_IJS8_SA_EEEEENSL_INS5_IJS8_NS7_IiLi2EEESA_EEELb0EEEEEENS5_IJSV_SW_SX_SY_SZ_S10_S11_S12_S13_NSU_IJLi11ELi13EEEES1A_EEENS5_IJS15_S16_S10_S17_S18_S13_S19_S1A_S1B_NSU_IJLi14EEEENSU_IJLi15ELi16ELi17EEEEEEENSU_IJLi15ELi16ELi17ELi14EEEES1E_EENS4_INS5_IJS1I_NSQ_ISM_EES1T_EEENS5_IJSV_NSU_IJLi1ELi3EEEENSU_IJLi2EEEEEEENS5_IJS1L_SY_NSU_IJLi6ELi7ELi8EEEEEEENSU_IJLi6ELi7ELi8ELi5EEEES1N_EELi16ELi32ELi256ELi256ELi128ELi16ELi16ELi8ELi8ELi32ELb0EE3RunILb1ELNS_10TailNumberE1ENS4_INS5_IJNS6_INS5_IJiiEEENS5_IJiSD_EEELb0EEENSL_IS2E_Lb0EEENSJ_IiEEEEENS5_IJSV_S25_NSU_IJLi1EEEEEEENS5_IJNSU_IJLi1ELi2EEEENSU_IJLi3ELi4EEEESY_EEENSU_IJLi3ELi5ELi4EEEElEES1F_NS_35ThreadGroupTensorSliceTransfer_v4r1INS_15ThisThreadBlockILi256EEENS_16tensor_operation12element_wise11PassThroughES2W_LNS_25InMemoryDataOperationEnumE0ENSU_IJLi8ELi256ELi16EEEENSU_IJLi8ELi32ELi1EEEENSU_IJLi1ELi0ELi2EEEES2_S2_RKS2Q_KS1F_S30_NSU_IJLi0ELi1ELi2EEEELi2ELi2ELi16ELi16ELi1ELi1ELb0ELb1ELi2EiEENS_13DynamicBufferILNS_16AddressSpaceEnumE1EKS2_lLb1ELNS_22AmdBufferCoherenceEnumE0EiEENS5_IJNS36_ILS37_2ES2_S1E_Lb1ELS39_0EiEES3B_EEENS5_IJiiiEEENS4_INS5_IJNS6_INS5_IJiiiiEEENS5_IJiiiSD_EEELb0EEEEEES1K_S1M_S1L_lEENS_32ThreadwiseTensorSliceTransfer_v2IS3_S3_RKS3I_KS1O_NSU_IJLi8ELi1ELi1ELi32EEEENSU_IJLi1ELi2ELi0ELi3EEEELi3ELi32ELi0ELb1ELb0ELb0EEENS36_ILS37_1EKS3_lLb1ELS39_0EiEENS5_IJNS_12StaticBufferILS37_4ES3_Li256ELb1EEES3T_EEES3E_NS_25StaticBufferTupleOfVectorILS37_4EfLi64ELi4ELb1ELb0EEEEEvRKT1_RKT2_RT3_RKT4_RT5_RKT6_RKT7_RT8_RKT9_RT10_RKT11_RT12_i.has_recursion, 0
	.set .L_ZNK2ck52BlockwiseGemmXdlops_pipeline_bpreshuffle_bdequant_v3ILNS_26BlockGemmPipelineSchedulerE0ELi256ENS_9f8_fnuz_tENS_7pk_i4_tES2_fNS_16TensorDescriptorINS_5TupleIJNS_5EmbedINS5_IJNS_17integral_constantIiLi8EEENS7_IiLi256EEENS7_IiLi16EEEEEENS5_IJSA_NS7_IiLi128EEENS7_IiLi1EEEEEELb0EEENS_3XorINS5_IJS9_S8_EEELb1EEENS_11PassThroughISA_EENS_7UnMergeINS5_IJS8_SD_EEELb0EEENSJ_IS9_EESK_NSJ_IS8_EENS_21Merge_v3_division_modINS5_IJS9_SD_EEEEESK_EEENS5_IJNS_8SequenceIJLi0EEEENSU_IJLi2ELi1EEEENSU_IJLi3EEEENSU_IJLi5EEEENSU_IJLi4EEEENSU_IJLi6EEEENSU_IJLi7EEEENSU_IJLi9ELi8EEEENSU_IJLi10EEEEEEENS5_IJNSU_IJLi1ELi2ELi3EEEENSU_IJLi4ELi5EEEES10_NSU_IJLi7ELi8EEEENSU_IJLi9EEEES13_NSU_IJLi11EEEENSU_IJLi12EEEENSU_IJLi13EEEEEEENSU_IJLi11ELi12ELi13EEEENS7_IlLl32768EEEEENS4_INS5_IJNSL_INS5_IJS8_SD_SD_NS7_IiLi32EEEEEELb0EEEEEENS5_IJSV_EEENS5_IJNSU_IJLi1ELi2ELi3ELi4EEEEEEES1L_NS7_IlLl256EEEEENS4_INS5_IJSF_SI_SK_SN_SO_SK_SP_SS_SK_NSQ_INS5_IJS8_SA_EEEEENSL_INS5_IJS8_NS7_IiLi2EEESA_EEELb0EEEEEENS5_IJSV_SW_SX_SY_SZ_S10_S11_S12_S13_NSU_IJLi11ELi13EEEES1A_EEENS5_IJS15_S16_S10_S17_S18_S13_S19_S1A_S1B_NSU_IJLi14EEEENSU_IJLi15ELi16ELi17EEEEEEENSU_IJLi15ELi16ELi17ELi14EEEES1E_EENS4_INS5_IJS1I_NSQ_ISM_EES1T_EEENS5_IJSV_NSU_IJLi1ELi3EEEENSU_IJLi2EEEEEEENS5_IJS1L_SY_NSU_IJLi6ELi7ELi8EEEEEEENSU_IJLi6ELi7ELi8ELi5EEEES1N_EELi16ELi32ELi256ELi256ELi128ELi16ELi16ELi8ELi8ELi32ELb0EE3RunILb1ELNS_10TailNumberE1ENS4_INS5_IJNS6_INS5_IJiiEEENS5_IJiSD_EEELb0EEENSL_IS2E_Lb0EEENSJ_IiEEEEENS5_IJSV_S25_NSU_IJLi1EEEEEEENS5_IJNSU_IJLi1ELi2EEEENSU_IJLi3ELi4EEEESY_EEENSU_IJLi3ELi5ELi4EEEElEES1F_NS_35ThreadGroupTensorSliceTransfer_v4r1INS_15ThisThreadBlockILi256EEENS_16tensor_operation12element_wise11PassThroughES2W_LNS_25InMemoryDataOperationEnumE0ENSU_IJLi8ELi256ELi16EEEENSU_IJLi8ELi32ELi1EEEENSU_IJLi1ELi0ELi2EEEES2_S2_RKS2Q_KS1F_S30_NSU_IJLi0ELi1ELi2EEEELi2ELi2ELi16ELi16ELi1ELi1ELb0ELb1ELi2EiEENS_13DynamicBufferILNS_16AddressSpaceEnumE1EKS2_lLb1ELNS_22AmdBufferCoherenceEnumE0EiEENS5_IJNS36_ILS37_2ES2_S1E_Lb1ELS39_0EiEES3B_EEENS5_IJiiiEEENS4_INS5_IJNS6_INS5_IJiiiiEEENS5_IJiiiSD_EEELb0EEEEEES1K_S1M_S1L_lEENS_32ThreadwiseTensorSliceTransfer_v2IS3_S3_RKS3I_KS1O_NSU_IJLi8ELi1ELi1ELi32EEEENSU_IJLi1ELi2ELi0ELi3EEEELi3ELi32ELi0ELb1ELb0ELb0EEENS36_ILS37_1EKS3_lLb1ELS39_0EiEENS5_IJNS_12StaticBufferILS37_4ES3_Li256ELb1EEES3T_EEES3E_NS_25StaticBufferTupleOfVectorILS37_4EfLi64ELi4ELb1ELb0EEEEEvRKT1_RKT2_RT3_RKT4_RT5_RKT6_RKT7_RT8_RKT9_RT10_RKT11_RT12_i.has_indirect_call, 0
	.section	.AMDGPU.csdata,"",@progbits
; Function info:
; codeLenInByte = 256800
; TotalNumSgprs: 38
; NumVgprs: 256
; NumAgprs: 54
; TotalNumVgprs: 310
; ScratchSize: 0
; MemoryBound: 0
	.section	.text._ZN2ck45kernel_gemm_xdl_cshuffle_v3_b_preshuffle_2ldsINS_41GridwiseGemm_xdl_cshuffle_v3_b_preshuffleINS_13tensor_layout4gemm8RowMajorENS3_11ColumnMajorES4_NS_9f8_fnuz_tENS_7pk_i4_tEfDF16_DF16_NS_16tensor_operation12element_wise11PassThroughESA_SA_LNS8_6device18GemmSpecializationE0ELi256ELi256ELi256ELi128ELi16ELi32ELi16ELi16ELi8ELi8ENS_8SequenceIJLi8ELi32ELi1EEEENSD_IJLi1ELi0ELi2EEEESF_Li2ELi16ELi16ELb0ELi0ENSD_IJLi4ELi64ELi1EEEESF_SF_Li2ELi32ELi32ELb0ELi0ELi1ELi1ENSD_IJLi1ELi32ELi1ELi8EEEELi4ELNS_26BlockGemmPipelineSchedulerE0ELNS_24BlockGemmPipelineVersionE2ES6_S6_Lb0ELb0ELi0EEELb1ELNS_25InMemoryDataOperationEnumE1ELi1ELNS_10TailNumberE1EEEvNT_8ArgumentE,"axG",@progbits,_ZN2ck45kernel_gemm_xdl_cshuffle_v3_b_preshuffle_2ldsINS_41GridwiseGemm_xdl_cshuffle_v3_b_preshuffleINS_13tensor_layout4gemm8RowMajorENS3_11ColumnMajorES4_NS_9f8_fnuz_tENS_7pk_i4_tEfDF16_DF16_NS_16tensor_operation12element_wise11PassThroughESA_SA_LNS8_6device18GemmSpecializationE0ELi256ELi256ELi256ELi128ELi16ELi32ELi16ELi16ELi8ELi8ENS_8SequenceIJLi8ELi32ELi1EEEENSD_IJLi1ELi0ELi2EEEESF_Li2ELi16ELi16ELb0ELi0ENSD_IJLi4ELi64ELi1EEEESF_SF_Li2ELi32ELi32ELb0ELi0ELi1ELi1ENSD_IJLi1ELi32ELi1ELi8EEEELi4ELNS_26BlockGemmPipelineSchedulerE0ELNS_24BlockGemmPipelineVersionE2ES6_S6_Lb0ELb0ELi0EEELb1ELNS_25InMemoryDataOperationEnumE1ELi1ELNS_10TailNumberE1EEEvNT_8ArgumentE,comdat
	.protected	_ZN2ck45kernel_gemm_xdl_cshuffle_v3_b_preshuffle_2ldsINS_41GridwiseGemm_xdl_cshuffle_v3_b_preshuffleINS_13tensor_layout4gemm8RowMajorENS3_11ColumnMajorES4_NS_9f8_fnuz_tENS_7pk_i4_tEfDF16_DF16_NS_16tensor_operation12element_wise11PassThroughESA_SA_LNS8_6device18GemmSpecializationE0ELi256ELi256ELi256ELi128ELi16ELi32ELi16ELi16ELi8ELi8ENS_8SequenceIJLi8ELi32ELi1EEEENSD_IJLi1ELi0ELi2EEEESF_Li2ELi16ELi16ELb0ELi0ENSD_IJLi4ELi64ELi1EEEESF_SF_Li2ELi32ELi32ELb0ELi0ELi1ELi1ENSD_IJLi1ELi32ELi1ELi8EEEELi4ELNS_26BlockGemmPipelineSchedulerE0ELNS_24BlockGemmPipelineVersionE2ES6_S6_Lb0ELb0ELi0EEELb1ELNS_25InMemoryDataOperationEnumE1ELi1ELNS_10TailNumberE1EEEvNT_8ArgumentE ; -- Begin function _ZN2ck45kernel_gemm_xdl_cshuffle_v3_b_preshuffle_2ldsINS_41GridwiseGemm_xdl_cshuffle_v3_b_preshuffleINS_13tensor_layout4gemm8RowMajorENS3_11ColumnMajorES4_NS_9f8_fnuz_tENS_7pk_i4_tEfDF16_DF16_NS_16tensor_operation12element_wise11PassThroughESA_SA_LNS8_6device18GemmSpecializationE0ELi256ELi256ELi256ELi128ELi16ELi32ELi16ELi16ELi8ELi8ENS_8SequenceIJLi8ELi32ELi1EEEENSD_IJLi1ELi0ELi2EEEESF_Li2ELi16ELi16ELb0ELi0ENSD_IJLi4ELi64ELi1EEEESF_SF_Li2ELi32ELi32ELb0ELi0ELi1ELi1ENSD_IJLi1ELi32ELi1ELi8EEEELi4ELNS_26BlockGemmPipelineSchedulerE0ELNS_24BlockGemmPipelineVersionE2ES6_S6_Lb0ELb0ELi0EEELb1ELNS_25InMemoryDataOperationEnumE1ELi1ELNS_10TailNumberE1EEEvNT_8ArgumentE
	.globl	_ZN2ck45kernel_gemm_xdl_cshuffle_v3_b_preshuffle_2ldsINS_41GridwiseGemm_xdl_cshuffle_v3_b_preshuffleINS_13tensor_layout4gemm8RowMajorENS3_11ColumnMajorES4_NS_9f8_fnuz_tENS_7pk_i4_tEfDF16_DF16_NS_16tensor_operation12element_wise11PassThroughESA_SA_LNS8_6device18GemmSpecializationE0ELi256ELi256ELi256ELi128ELi16ELi32ELi16ELi16ELi8ELi8ENS_8SequenceIJLi8ELi32ELi1EEEENSD_IJLi1ELi0ELi2EEEESF_Li2ELi16ELi16ELb0ELi0ENSD_IJLi4ELi64ELi1EEEESF_SF_Li2ELi32ELi32ELb0ELi0ELi1ELi1ENSD_IJLi1ELi32ELi1ELi8EEEELi4ELNS_26BlockGemmPipelineSchedulerE0ELNS_24BlockGemmPipelineVersionE2ES6_S6_Lb0ELb0ELi0EEELb1ELNS_25InMemoryDataOperationEnumE1ELi1ELNS_10TailNumberE1EEEvNT_8ArgumentE
	.p2align	8
	.type	_ZN2ck45kernel_gemm_xdl_cshuffle_v3_b_preshuffle_2ldsINS_41GridwiseGemm_xdl_cshuffle_v3_b_preshuffleINS_13tensor_layout4gemm8RowMajorENS3_11ColumnMajorES4_NS_9f8_fnuz_tENS_7pk_i4_tEfDF16_DF16_NS_16tensor_operation12element_wise11PassThroughESA_SA_LNS8_6device18GemmSpecializationE0ELi256ELi256ELi256ELi128ELi16ELi32ELi16ELi16ELi8ELi8ENS_8SequenceIJLi8ELi32ELi1EEEENSD_IJLi1ELi0ELi2EEEESF_Li2ELi16ELi16ELb0ELi0ENSD_IJLi4ELi64ELi1EEEESF_SF_Li2ELi32ELi32ELb0ELi0ELi1ELi1ENSD_IJLi1ELi32ELi1ELi8EEEELi4ELNS_26BlockGemmPipelineSchedulerE0ELNS_24BlockGemmPipelineVersionE2ES6_S6_Lb0ELb0ELi0EEELb1ELNS_25InMemoryDataOperationEnumE1ELi1ELNS_10TailNumberE1EEEvNT_8ArgumentE,@function
_ZN2ck45kernel_gemm_xdl_cshuffle_v3_b_preshuffle_2ldsINS_41GridwiseGemm_xdl_cshuffle_v3_b_preshuffleINS_13tensor_layout4gemm8RowMajorENS3_11ColumnMajorES4_NS_9f8_fnuz_tENS_7pk_i4_tEfDF16_DF16_NS_16tensor_operation12element_wise11PassThroughESA_SA_LNS8_6device18GemmSpecializationE0ELi256ELi256ELi256ELi128ELi16ELi32ELi16ELi16ELi8ELi8ENS_8SequenceIJLi8ELi32ELi1EEEENSD_IJLi1ELi0ELi2EEEESF_Li2ELi16ELi16ELb0ELi0ENSD_IJLi4ELi64ELi1EEEESF_SF_Li2ELi32ELi32ELb0ELi0ELi1ELi1ENSD_IJLi1ELi32ELi1ELi8EEEELi4ELNS_26BlockGemmPipelineSchedulerE0ELNS_24BlockGemmPipelineVersionE2ES6_S6_Lb0ELb0ELi0EEELb1ELNS_25InMemoryDataOperationEnumE1ELi1ELNS_10TailNumberE1EEEvNT_8ArgumentE: ; @_ZN2ck45kernel_gemm_xdl_cshuffle_v3_b_preshuffle_2ldsINS_41GridwiseGemm_xdl_cshuffle_v3_b_preshuffleINS_13tensor_layout4gemm8RowMajorENS3_11ColumnMajorES4_NS_9f8_fnuz_tENS_7pk_i4_tEfDF16_DF16_NS_16tensor_operation12element_wise11PassThroughESA_SA_LNS8_6device18GemmSpecializationE0ELi256ELi256ELi256ELi128ELi16ELi32ELi16ELi16ELi8ELi8ENS_8SequenceIJLi8ELi32ELi1EEEENSD_IJLi1ELi0ELi2EEEESF_Li2ELi16ELi16ELb0ELi0ENSD_IJLi4ELi64ELi1EEEESF_SF_Li2ELi32ELi32ELb0ELi0ELi1ELi1ENSD_IJLi1ELi32ELi1ELi8EEEELi4ELNS_26BlockGemmPipelineSchedulerE0ELNS_24BlockGemmPipelineVersionE2ES6_S6_Lb0ELb0ELi0EEELb1ELNS_25InMemoryDataOperationEnumE1ELi1ELNS_10TailNumberE1EEEvNT_8ArgumentE
; %bb.0:
	s_mov_b32 s24, s2
	s_load_dwordx4 s[28:31], s[0:1], 0x10
	s_load_dwordx2 s[26:27], s[0:1], 0x24
	s_load_dword s10, s[0:1], 0x68
	s_load_dword s2, s[0:1], 0x34
	;; [unrolled: 1-line block ×3, first 2 shown]
	s_load_dwordx2 s[8:9], s[0:1], 0x60
	s_load_dwordx4 s[4:7], s[0:1], 0x50
	s_waitcnt lgkmcnt(0)
	s_cmp_gt_i32 s27, 1
	s_cselect_b64 s[0:1], -1, 0
	s_bitcmp1_b32 s10, 0
	s_cselect_b64 s[10:11], -1, 0
	s_and_b64 s[0:1], s[0:1], s[10:11]
	v_mov_b32_e32 v11, v0
	s_andn2_b64 vcc, exec, s[0:1]
	s_mov_b64 s[10:11], 0
	s_movk_i32 s32, 0xcf0
	s_cbranch_vccnz .LBB4_2
; %bb.1:
	s_mul_i32 s0, s28, s3
	s_mul_i32 s10, s0, s29
	s_ashr_i32 s11, s10, 31
.LBB4_2:
	s_add_i32 s1, s27, -1
	s_mul_i32 s13, s1, s2
	s_sub_i32 s13, s30, s13
	s_mul_i32 s0, s2, s3
	s_cmp_lt_u32 s3, s1
	s_cselect_b32 s1, s2, s13
	s_ashr_i32 s2, s0, 31
	s_add_u32 s18, s4, s0
	s_addc_u32 s2, s5, s2
	s_add_i32 s0, s30, 0x7f
	s_ashr_i32 s4, s0, 31
	s_lshr_b32 s4, s4, 25
	s_add_i32 s13, s28, -1
	s_add_i32 s0, s0, s4
	s_mul_i32 s4, s13, s31
	s_add_i32 s16, s29, 15
	s_ashr_i32 s17, s0, 7
	s_ashr_i32 s5, s4, 31
	;; [unrolled: 1-line block ×3, first 2 shown]
	s_add_u32 s4, s4, s1
	s_addc_u32 s5, s5, s14
	s_mul_i32 s14, s28, s12
	s_lshl_b32 s14, s14, 4
	v_mov_b32_e32 v0, s28
	v_mov_b32_e32 v1, s1
	;; [unrolled: 1-line block ×3, first 2 shown]
	s_ashr_i32 s19, s16, 31
	v_mov_b32_e32 v4, 0
	scratch_store_dwordx3 off, v[0:2], off offset:3200
	scratch_store_dword off, v4, off offset:3212
	v_mov_b32_e32 v7, 16
	v_mov_b32_e32 v1, s14
	s_getpc_b64 s[14:15]
	s_add_u32 s14, s14, _ZN2ck41GridwiseGemm_xdl_cshuffle_v3_b_preshuffleINS_13tensor_layout4gemm8RowMajorENS2_11ColumnMajorES3_NS_9f8_fnuz_tENS_7pk_i4_tEfDF16_DF16_NS_16tensor_operation12element_wise11PassThroughES9_S9_LNS7_6device18GemmSpecializationE0ELi256ELi256ELi256ELi128ELi16ELi32ELi16ELi16ELi8ELi8ENS_8SequenceIJLi8ELi32ELi1EEEENSC_IJLi1ELi0ELi2EEEESE_Li2ELi16ELi16ELb0ELi0ENSC_IJLi4ELi64ELi1EEEESE_SE_Li2ELi32ELi32ELb0ELi0ELi1ELi1ENSC_IJLi1ELi32ELi1ELi8EEEELi4ELNS_26BlockGemmPipelineSchedulerE0ELNS_24BlockGemmPipelineVersionE2ES5_S5_Lb0ELb0ELi0EE5NWaveE@rel32@lo+4
	s_addc_u32 s15, s15, _ZN2ck41GridwiseGemm_xdl_cshuffle_v3_b_preshuffleINS_13tensor_layout4gemm8RowMajorENS2_11ColumnMajorES3_NS_9f8_fnuz_tENS_7pk_i4_tEfDF16_DF16_NS_16tensor_operation12element_wise11PassThroughES9_S9_LNS7_6device18GemmSpecializationE0ELi256ELi256ELi256ELi128ELi16ELi32ELi16ELi16ELi8ELi8ENS_8SequenceIJLi8ELi32ELi1EEEENSC_IJLi1ELi0ELi2EEEESE_Li2ELi16ELi16ELb0ELi0ENSC_IJLi4ELi64ELi1EEEESE_SE_Li2ELi32ELi32ELb0ELi0ELi1ELi1ENSC_IJLi1ELi32ELi1ELi8EEEELi4ELNS_26BlockGemmPipelineSchedulerE0ELNS_24BlockGemmPipelineVersionE2ES5_S5_Lb0ELb0ELi0EE5NWaveE@rel32@hi+12
	s_load_dword s20, s[14:15], 0x0
	s_lshr_b32 s14, s19, 27
	s_add_i32 s16, s16, s14
	s_ashr_i32 s19, s16, 5
	s_add_i32 s16, s19, -1
	s_lshl_b32 s15, s17, 12
	s_waitcnt lgkmcnt(0)
	s_add_i32 s21, s20, -1
	s_lshl_b32 s14, s17, 11
	s_mul_i32 s16, s16, s15
	s_mul_i32 s21, s21, s14
	s_add_i32 s22, s14, 0xfffff800
	s_bitset1_b32 s16, 11
	v_mov_b32_e32 v6, s12
	v_mov_b32_e32 v8, v7
	;; [unrolled: 1-line block ×3, first 2 shown]
	s_ashr_i32 s17, s21, 31
	s_ashr_i32 s23, s22, 31
	;; [unrolled: 1-line block ×3, first 2 shown]
	scratch_store_dwordx3 off, v[6:8], off offset:3216
	scratch_store_byte off, v4, off offset:3228
	scratch_store_dwordx2 off, v[0:1], off offset:3232
	v_mov_b64_e32 v[0:1], s[4:5]
	s_add_u32 s16, s16, s22
	scratch_store_dwordx2 off, v[0:1], off offset:3240
	v_mov_b32_e32 v0, s19
	v_mov_b32_e32 v1, s20
	;; [unrolled: 1-line block ×3, first 2 shown]
	s_addc_u32 s22, s25, s23
	s_mul_i32 s19, s14, s19
	scratch_store_dwordx4 off, v[0:3], off offset:3248
	s_add_u32 s16, s16, s21
	s_mul_i32 s19, s19, s20
	v_mov_b32_e32 v0, s15
	v_mov_b32_e32 v1, s14
	;; [unrolled: 1-line block ×3, first 2 shown]
	s_addc_u32 s17, s22, s17
	scratch_store_dwordx3 off, v[0:2], off offset:3264
	v_mov_b32_e32 v3, s5
	s_mov_b32 s0, 0
	v_mov_b32_e32 v0, s19
	scratch_store_dword off, v0, off offset:3280
	v_mov_b64_e32 v[0:1], s[16:17]
	scratch_store_dwordx2 off, v[0:1], off offset:3288
	v_mov_b32_e32 v0, s18
	v_mov_b32_e32 v1, s2
	v_mov_b32_e32 v2, s4
	scratch_store_dwordx4 off, v[0:3], off
	scratch_store_byte off, v4, off offset:16
	s_cmpk_lt_u32 s13, 0x100
	v_mov_b32_e32 v0, s6
	v_mov_b32_e32 v1, s7
	;; [unrolled: 1-line block ×4, first 2 shown]
	scratch_store_dwordx4 off, v[0:3], off offset:24
	scratch_store_byte off, v4, off offset:40
	s_cbranch_scc1 .LBB4_6
; %bb.3:
	s_add_i32 s2, s29, -1
	s_cmpk_lt_u32 s2, 0x100
	s_mov_b32 s2, 0
	s_cbranch_scc1 .LBB4_10
; %bb.4:
	s_add_i32 s2, s28, 0xff
	s_ashr_i32 s4, s2, 31
	s_lshr_b32 s4, s4, 24
	s_add_i32 s2, s2, s4
	s_ashr_i32 s6, s2, 8
	s_add_i32 s2, s29, 0xff
	s_ashr_i32 s4, s2, 31
	s_lshr_b32 s4, s4, 24
	s_add_i32 s2, s2, s4
	s_ashr_i32 s2, s2, 8
	s_mul_i32 s4, s2, s6
	s_add_i32 s5, s4, 7
	s_ashr_i32 s7, s5, 31
	s_lshr_b32 s7, s7, 29
	s_add_i32 s5, s5, s7
	s_ashr_i32 s7, s5, 3
	s_and_b32 s5, s5, -8
	s_sub_i32 s16, s4, s5
	s_ashr_i32 s4, s24, 31
	s_lshr_b32 s4, s4, 29
	s_add_i32 s19, s24, s4
	s_and_b32 s4, s19, -8
	s_add_i32 s16, s16, 8
	s_sub_i32 s18, s24, s4
	s_cmp_gt_i32 s18, s16
	s_cbranch_scc1 .LBB4_7
; %bb.5:
	s_mul_i32 s17, s7, s18
	s_ashr_i32 s4, s19, 3
	s_cbranch_execz .LBB4_8
	s_branch .LBB4_9
.LBB4_6:
	s_mov_b32 s25, 0
	s_branch .LBB4_11
.LBB4_7:
                                        ; implicit-def: $sgpr17
	s_ashr_i32 s4, s19, 3
.LBB4_8:
	s_add_i32 s5, s7, -1
	s_mul_i32 s5, s5, s18
	s_add_i32 s17, s16, s5
.LBB4_9:
	s_abs_i32 s5, s2
	v_cvt_f32_u32_e32 v0, s5
	s_add_i32 s4, s17, s4
	s_sub_i32 s17, 0, s5
	s_abs_i32 s16, s4
	v_rcp_iflag_f32_e32 v0, v0
	s_xor_b32 s7, s4, s2
	s_ashr_i32 s7, s7, 31
	v_mul_f32_e32 v0, 0x4f7ffffe, v0
	v_cvt_u32_f32_e32 v0, v0
	s_nop 0
	v_readfirstlane_b32 s18, v0
	s_mul_i32 s17, s17, s18
	s_mul_hi_u32 s17, s18, s17
	s_add_i32 s18, s18, s17
	s_mul_hi_u32 s17, s16, s18
	s_mul_i32 s18, s17, s5
	s_sub_i32 s16, s16, s18
	s_add_i32 s19, s17, 1
	s_sub_i32 s18, s16, s5
	s_cmp_ge_u32 s16, s5
	s_cselect_b32 s17, s19, s17
	s_cselect_b32 s16, s18, s16
	s_add_i32 s18, s17, 1
	s_cmp_ge_u32 s16, s5
	s_cselect_b32 s5, s18, s17
	s_xor_b32 s5, s5, s7
	s_lshr_b32 s16, s6, 30
	s_sub_i32 s5, s5, s7
	s_add_i32 s16, s6, s16
	s_mul_i32 s7, s5, s2
	s_sub_i32 s4, s4, s7
	s_and_b32 s7, s16, -4
	s_sub_i32 s6, s6, s7
	s_cmp_ge_i32 s5, s7
	s_cselect_b32 s6, s6, 4
	s_abs_i32 s16, s6
	v_cvt_f32_u32_e32 v0, s16
	s_ashr_i32 s7, s5, 31
	s_lshr_b32 s7, s7, 30
	s_add_i32 s7, s5, s7
	v_rcp_iflag_f32_e32 v0, v0
	s_and_b32 s7, s7, -4
	s_sub_i32 s7, s5, s7
	s_sub_i32 s18, 0, s16
	v_mul_f32_e32 v0, 0x4f7ffffe, v0
	v_cvt_u32_f32_e32 v0, v0
	s_mul_i32 s2, s7, s2
	s_add_i32 s4, s2, s4
	s_abs_i32 s17, s4
	v_readfirstlane_b32 s19, v0
	s_mul_i32 s18, s18, s19
	s_mul_hi_u32 s18, s19, s18
	s_add_i32 s19, s19, s18
	s_mul_hi_u32 s18, s17, s19
	s_mul_i32 s19, s18, s16
	s_xor_b32 s2, s4, s6
	s_sub_i32 s17, s17, s19
	s_ashr_i32 s2, s2, 31
	s_add_i32 s19, s18, 1
	s_sub_i32 s20, s17, s16
	s_cmp_ge_u32 s17, s16
	s_cselect_b32 s18, s19, s18
	s_cselect_b32 s17, s20, s17
	s_add_i32 s19, s18, 1
	s_cmp_ge_u32 s17, s16
	s_cselect_b32 s16, s19, s18
	s_xor_b32 s16, s16, s2
	s_sub_i32 s2, s16, s2
	s_mul_i32 s6, s2, s6
	s_sub_i32 s4, s4, s6
	s_add_i32 s4, s4, s5
	s_sub_i32 s24, s4, s7
.LBB4_10:
	s_mov_b32 s25, s24
	s_mov_b32 s24, s2
.LBB4_11:
	s_addk_i32 s1, 0x7f
	s_ashr_i32 s2, s1, 31
	s_lshr_b32 s2, s2, 25
	s_add_i32 s1, s1, s2
	s_ashr_i32 s4, s1, 7
	s_mov_b32 s1, s0
	s_mul_i32 s4, s4, s3
	s_mov_b32 s2, s0
	s_mov_b32 s3, s0
	v_mov_b64_e32 v[0:1], s[0:1]
	v_mov_b64_e32 v[2:3], s[2:3]
	scratch_store_short off, v4, off offset:176
	scratch_store_dwordx4 off, v[0:3], off offset:160
	scratch_store_dwordx4 off, v[0:3], off offset:144
	scratch_store_dwordx4 off, v[0:3], off offset:128
	scratch_store_dwordx4 off, v[0:3], off offset:112
	scratch_store_dwordx4 off, v[0:3], off offset:96
	scratch_store_dwordx4 off, v[0:3], off offset:80
	scratch_store_dwordx4 off, v[0:3], off offset:64
	scratch_store_dwordx4 off, v[0:3], off offset:48
	scratch_store_short off, v4, off offset:320
	scratch_store_dwordx4 off, v[0:3], off offset:192
	scratch_store_dwordx4 off, v[0:3], off offset:208
	;; [unrolled: 1-line block ×8, first 2 shown]
	scratch_store_byte off, v4, off offset:464
	scratch_store_dwordx4 off, v[0:3], off offset:448
	scratch_store_dwordx4 off, v[0:3], off offset:432
	scratch_store_dwordx4 off, v[0:3], off offset:416
	scratch_store_dwordx4 off, v[0:3], off offset:400
	scratch_store_dwordx4 off, v[0:3], off offset:384
	scratch_store_dwordx4 off, v[0:3], off offset:368
	scratch_store_dwordx4 off, v[0:3], off offset:352
	scratch_store_dwordx4 off, v[0:3], off offset:336
	scratch_store_dwordx4 off, v[0:3], off offset:466
	scratch_store_dwordx4 off, v[0:3], off offset:482
	scratch_store_dwordx4 off, v[0:3], off offset:498
	scratch_store_dwordx4 off, v[0:3], off offset:514
	scratch_store_dwordx4 off, v[0:3], off offset:530
	scratch_store_dwordx4 off, v[0:3], off offset:546
	scratch_store_dwordx4 off, v[0:3], off offset:562
	scratch_store_dwordx4 off, v[0:3], off offset:578
	scratch_store_byte off, v4, off offset:594
	scratch_store_short off, v4, off offset:736
	scratch_store_dwordx4 off, v[0:3], off offset:720
	scratch_store_dwordx4 off, v[0:3], off offset:704
	;; [unrolled: 1-line block ×8, first 2 shown]
	v_and_b32_e32 v9, 0x3f8, v11
	v_lshl_or_b32 v5, s25, 8, v9
	v_and_b32_e32 v3, 7, v11
	v_lshlrev_b32_e32 v2, 4, v3
	v_mad_u64_u32 v[0:1], s[0:1], v5, s31, v[2:3]
	s_lshl_b32 s5, s24, 3
	v_mov_b32_e32 v1, v5
	v_lshl_or_b32 v6, v9, 7, v2
	s_mov_b64 s[6:7], src_shared_base
	scratch_store_dwordx4 off, v[0:3], off offset:752
	scratch_store_dwordx3 off, v[4:6], off offset:768
	v_mov_b32_e32 v8, v3
	v_mov_b32_e32 v10, v4
	;; [unrolled: 1-line block ×7, first 2 shown]
	s_getpc_b64 s[0:1]
	s_add_u32 s0, s0, __const._ZN2ck41GridwiseGemm_xdl_cshuffle_v3_b_preshuffleINS_13tensor_layout4gemm8RowMajorENS2_11ColumnMajorES3_NS_9f8_fnuz_tENS_7pk_i4_tEfDF16_DF16_NS_16tensor_operation12element_wise11PassThroughES9_S9_LNS7_6device18GemmSpecializationE0ELi256ELi256ELi256ELi128ELi16ELi32ELi16ELi16ELi8ELi8ENS_8SequenceIJLi8ELi32ELi1EEEENSC_IJLi1ELi0ELi2EEEESE_Li2ELi16ELi16ELb0ELi0ENSC_IJLi4ELi64ELi1EEEESE_SE_Li2ELi32ELi32ELb0ELi0ELi1ELi1ENSC_IJLi1ELi32ELi1ELi8EEEELi4ELNS_26BlockGemmPipelineSchedulerE0ELNS_24BlockGemmPipelineVersionE2ES5_S5_Lb0ELb0ELi0EE8Run_2LdsIKNS_16TensorDescriptorINS_5TupleIJNS_5EmbedINSM_IJiiEEENSM_IJiNS_17integral_constantIiLi1EEEEEELb0EEENS_7UnMergeISO_Lb0EEENS_11PassThroughIiEEEEENSM_IJNSC_IJLi0EEEENSC_IJLi2EEEENSC_IJLi1EEEEEEENSM_IJNSC_IJLi1ELi2EEEENSC_IJLi3ELi4EEEENSC_IJLi5EEEEEEENSC_IJLi3ELi5ELi4EEEElEEKNSL_INSM_IJNSN_INSM_IJiiiiEEENSM_IJiiiSQ_EEELb0EEEEEENSM_IJSY_EEENSM_IJNSC_IJLi1ELi2ELi3ELi4EEEEEEES1E_lEEKNSL_INSM_IJSS_NS_8RightPadIiiLb0EEES1J_NST_INSM_IJiNSP_IiLi256EEEEEELb0EEES1M_EEENSM_IJSY_S10_SZ_NSC_IJLi3EEEENSC_IJLi4EEEEEEENSM_IJS12_S1O_S1P_NSC_IJLi5ELi6EEEENSC_IJLi7ELi8EEEEEEENSC_IJLi5ELi6ELi7ELi8EEEElEELb1ELNS_25InMemoryDataOperationEnumE1ELNS_10TailNumberE1EEEvPKS5_PKS6_PDF16_PvS24_RKNSJ_7ProblemERKT_RKT0_RKT1_i.a_block_slice_copy_step@rel32@lo+4
	s_addc_u32 s1, s1, __const._ZN2ck41GridwiseGemm_xdl_cshuffle_v3_b_preshuffleINS_13tensor_layout4gemm8RowMajorENS2_11ColumnMajorES3_NS_9f8_fnuz_tENS_7pk_i4_tEfDF16_DF16_NS_16tensor_operation12element_wise11PassThroughES9_S9_LNS7_6device18GemmSpecializationE0ELi256ELi256ELi256ELi128ELi16ELi32ELi16ELi16ELi8ELi8ENS_8SequenceIJLi8ELi32ELi1EEEENSC_IJLi1ELi0ELi2EEEESE_Li2ELi16ELi16ELb0ELi0ENSC_IJLi4ELi64ELi1EEEESE_SE_Li2ELi32ELi32ELb0ELi0ELi1ELi1ENSC_IJLi1ELi32ELi1ELi8EEEELi4ELNS_26BlockGemmPipelineSchedulerE0ELNS_24BlockGemmPipelineVersionE2ES5_S5_Lb0ELb0ELi0EE8Run_2LdsIKNS_16TensorDescriptorINS_5TupleIJNS_5EmbedINSM_IJiiEEENSM_IJiNS_17integral_constantIiLi1EEEEEELb0EEENS_7UnMergeISO_Lb0EEENS_11PassThroughIiEEEEENSM_IJNSC_IJLi0EEEENSC_IJLi2EEEENSC_IJLi1EEEEEEENSM_IJNSC_IJLi1ELi2EEEENSC_IJLi3ELi4EEEENSC_IJLi5EEEEEEENSC_IJLi3ELi5ELi4EEEElEEKNSL_INSM_IJNSN_INSM_IJiiiiEEENSM_IJiiiSQ_EEELb0EEEEEENSM_IJSY_EEENSM_IJNSC_IJLi1ELi2ELi3ELi4EEEEEEES1E_lEEKNSL_INSM_IJSS_NS_8RightPadIiiLb0EEES1J_NST_INSM_IJiNSP_IiLi256EEEEEELb0EEES1M_EEENSM_IJSY_S10_SZ_NSC_IJLi3EEEENSC_IJLi4EEEEEEENSM_IJS12_S1O_S1P_NSC_IJLi5ELi6EEEENSC_IJLi7ELi8EEEEEEENSC_IJLi5ELi6ELi7ELi8EEEElEELb1ELNS_25InMemoryDataOperationEnumE1ELNS_10TailNumberE1EEEvPKS5_PKS6_PDF16_PvS24_RKNSJ_7ProblemERKT_RKT0_RKT1_i.a_block_slice_copy_step@rel32@hi+12
	scratch_store_dwordx3 off, v[8:10], off offset:780
	scratch_store_dwordx4 off, v[0:3], off offset:792
	scratch_store_dwordx3 off, v[4:6], off offset:808
	scratch_store_dwordx3 off, v[8:10], off offset:820
	v_mov_b32_e32 v7, s7
	v_mov_b32_e32 v5, s7
	s_load_dwordx2 s[6:7], s[0:1], 0x0
	s_getpc_b64 s[16:17]
	s_add_u32 s16, s16, __const._ZN2ck41GridwiseGemm_xdl_cshuffle_v3_b_preshuffleINS_13tensor_layout4gemm8RowMajorENS2_11ColumnMajorES3_NS_9f8_fnuz_tENS_7pk_i4_tEfDF16_DF16_NS_16tensor_operation12element_wise11PassThroughES9_S9_LNS7_6device18GemmSpecializationE0ELi256ELi256ELi256ELi128ELi16ELi32ELi16ELi16ELi8ELi8ENS_8SequenceIJLi8ELi32ELi1EEEENSC_IJLi1ELi0ELi2EEEESE_Li2ELi16ELi16ELb0ELi0ENSC_IJLi4ELi64ELi1EEEESE_SE_Li2ELi32ELi32ELb0ELi0ELi1ELi1ENSC_IJLi1ELi32ELi1ELi8EEEELi4ELNS_26BlockGemmPipelineSchedulerE0ELNS_24BlockGemmPipelineVersionE2ES5_S5_Lb0ELb0ELi0EE8Run_2LdsIKNS_16TensorDescriptorINS_5TupleIJNS_5EmbedINSM_IJiiEEENSM_IJiNS_17integral_constantIiLi1EEEEEELb0EEENS_7UnMergeISO_Lb0EEENS_11PassThroughIiEEEEENSM_IJNSC_IJLi0EEEENSC_IJLi2EEEENSC_IJLi1EEEEEEENSM_IJNSC_IJLi1ELi2EEEENSC_IJLi3ELi4EEEENSC_IJLi5EEEEEEENSC_IJLi3ELi5ELi4EEEElEEKNSL_INSM_IJNSN_INSM_IJiiiiEEENSM_IJiiiSQ_EEELb0EEEEEENSM_IJSY_EEENSM_IJNSC_IJLi1ELi2ELi3ELi4EEEEEEES1E_lEEKNSL_INSM_IJSS_NS_8RightPadIiiLb0EEES1J_NST_INSM_IJiNSP_IiLi256EEEEEELb0EEES1M_EEENSM_IJSY_S10_SZ_NSC_IJLi3EEEENSC_IJLi4EEEEEEENSM_IJS12_S1O_S1P_NSC_IJLi5ELi6EEEENSC_IJLi7ELi8EEEEEEENSC_IJLi5ELi6ELi7ELi8EEEElEELb1ELNS_25InMemoryDataOperationEnumE1ELNS_10TailNumberE1EEEvPKS5_PKS6_PDF16_PvS24_RKNSJ_7ProblemERKT_RKT0_RKT1_i.b_block_slice_copy_step@rel32@lo+4
	s_addc_u32 s17, s17, __const._ZN2ck41GridwiseGemm_xdl_cshuffle_v3_b_preshuffleINS_13tensor_layout4gemm8RowMajorENS2_11ColumnMajorES3_NS_9f8_fnuz_tENS_7pk_i4_tEfDF16_DF16_NS_16tensor_operation12element_wise11PassThroughES9_S9_LNS7_6device18GemmSpecializationE0ELi256ELi256ELi256ELi128ELi16ELi32ELi16ELi16ELi8ELi8ENS_8SequenceIJLi8ELi32ELi1EEEENSC_IJLi1ELi0ELi2EEEESE_Li2ELi16ELi16ELb0ELi0ENSC_IJLi4ELi64ELi1EEEESE_SE_Li2ELi32ELi32ELb0ELi0ELi1ELi1ENSC_IJLi1ELi32ELi1ELi8EEEELi4ELNS_26BlockGemmPipelineSchedulerE0ELNS_24BlockGemmPipelineVersionE2ES5_S5_Lb0ELb0ELi0EE8Run_2LdsIKNS_16TensorDescriptorINS_5TupleIJNS_5EmbedINSM_IJiiEEENSM_IJiNS_17integral_constantIiLi1EEEEEELb0EEENS_7UnMergeISO_Lb0EEENS_11PassThroughIiEEEEENSM_IJNSC_IJLi0EEEENSC_IJLi2EEEENSC_IJLi1EEEEEEENSM_IJNSC_IJLi1ELi2EEEENSC_IJLi3ELi4EEEENSC_IJLi5EEEEEEENSC_IJLi3ELi5ELi4EEEElEEKNSL_INSM_IJNSN_INSM_IJiiiiEEENSM_IJiiiSQ_EEELb0EEEEEENSM_IJSY_EEENSM_IJNSC_IJLi1ELi2ELi3ELi4EEEEEEES1E_lEEKNSL_INSM_IJSS_NS_8RightPadIiiLb0EEES1J_NST_INSM_IJiNSP_IiLi256EEEEEELb0EEES1M_EEENSM_IJSY_S10_SZ_NSC_IJLi3EEEENSC_IJLi4EEEEEEENSM_IJS12_S1O_S1P_NSC_IJLi5ELi6EEEENSC_IJLi7ELi8EEEEEEENSC_IJLi5ELi6ELi7ELi8EEEElEELb1ELNS_25InMemoryDataOperationEnumE1ELNS_10TailNumberE1EEEvPKS5_PKS6_PDF16_PvS24_RKNSJ_7ProblemERKT_RKT0_RKT1_i.b_block_slice_copy_step@rel32@hi+12
	s_load_dwordx4 s[0:3], s[16:17], 0x0
	v_lshlrev_b32_e32 v0, 5, v11
	v_and_b32_e32 v1, 0x7e0, v0
	v_mov_b32_e32 v0, s5
	scratch_store_dword off, v0, off offset:852
	v_mov_b32_e32 v0, s4
	v_mov_b32_e32 v6, 0x8000
	scratch_store_dwordx2 off, v[0:1], off offset:860
	scratch_store_dwordx2 off, v[4:5], off offset:872
	scratch_store_byte off, v4, off offset:881
	scratch_store_dwordx2 off, v[6:7], off offset:888
	scratch_store_byte off, v4, off offset:897
	s_waitcnt lgkmcnt(0)
	v_mov_b64_e32 v[6:7], s[6:7]
	scratch_store_dwordx2 off, v[6:7], off offset:904
	v_mov_b64_e32 v[8:9], s[2:3]
	v_mov_b32_e32 v0, 0
	v_mov_b64_e32 v[6:7], s[0:1]
	s_mov_b32 s0, 1
	scratch_store_dword off, v0, off offset:912
	scratch_store_dwordx4 off, v[6:9], off offset:916
.LBB4_12:                               ; =>This Inner Loop Header: Depth=1
	s_add_i32 s1, s0, 0x3b0
	s_add_i32 s1, s1, -1
	scratch_store_byte off, v4, s1
	s_add_i32 s1, s0, 1
	s_cmpk_lt_u32 s0, 0x4d0
	s_mov_b32 s0, s1
	s_cbranch_scc1 .LBB4_12
; %bb.13:
	s_mov_b64 s[0:1], src_private_base
	s_lshl_b64 s[2:3], s[10:11], 1
	v_lshrrev_b32_e32 v0, 6, v11
	s_add_u32 s36, s8, s2
	s_mul_i32 s0, s13, s26
	s_mul_hi_u32 s27, 0, s26
	v_lshlrev_b32_e32 v2, 1, v11
	v_and_b32_e32 v0, 1, v0
	s_addc_u32 s37, s9, s3
	s_add_i32 s27, s27, s0
	s_mul_i32 s0, s5, s15
	s_lshl_b32 s2, s4, 11
	v_and_b32_e32 v15, 0x60, v2
	v_mul_lo_u32 v2, s14, v0
	v_lshrrev_b32_e32 v12, 7, v11
	v_and_b32_e32 v13, 15, v11
	v_or_b32_e32 v1, v2, v1
	s_add_i32 s0, s0, s2
	v_lshrrev_b32_e32 v9, 4, v15
	v_add_u32_e32 v1, s0, v1
	v_lshl_or_b32 v6, v12, 4, v13
	v_xor_b32_e32 v5, v9, v3
	scratch_store_dword off, v9, off offset:1996
	scratch_store_dword off, v15, off offset:2024
	;; [unrolled: 1-line block ×5, first 2 shown]
	v_lshlrev_b32_e32 v1, 7, v6
	v_lshl_or_b32 v4, v5, 4, v1
	scratch_store_dwordx3 off, v[4:6], off offset:1968
	v_mov_b32_e32 v8, v6
	v_lshl_or_b32 v2, v0, 4, v13
	v_mov_b32_e32 v4, v9
	v_mov_b32_e32 v5, v6
	v_bfe_u32 v7, v11, 4, 2
	scratch_store_dwordx2 off, v[8:9], off offset:1984
	scratch_store_dword off, v6, off offset:2004
	scratch_store_dwordx2 off, v[4:5], off offset:2012
	v_or_b32_e32 v4, v2, v15
	v_lshlrev_b32_e32 v5, 1, v7
	v_lshlrev_b32_e32 v14, 5, v4
	v_xor_b32_e32 v3, v5, v3
	scratch_store_dwordx4 off, v[12:15], off offset:2032
	scratch_store_dword off, v2, off offset:2048
	v_lshl_or_b32 v2, v3, 4, v1
	v_mov_b32_e32 v1, v13
	s_mov_b32 s4, 0
	s_ashr_i32 s0, s12, 31
	scratch_store_dwordx4 off, v[0:3], off offset:2068
	scratch_store_dword off, v6, off offset:2084
	v_mov_b32_e32 v4, v6
	v_mov_b32_e32 v0, v5
	;; [unrolled: 1-line block ×3, first 2 shown]
	s_mov_b32 s5, s4
	s_lshr_b32 s0, s0, 29
	v_lshlrev_b32_e32 v8, 5, v7
	scratch_store_dwordx2 off, v[4:5], off offset:2092
	scratch_store_dword off, v5, off offset:2104
	scratch_store_dword off, v6, off offset:2112
	scratch_store_dwordx2 off, v[0:1], off offset:2120
	scratch_store_dword off, v8, off offset:2132
	scratch_store_dwordx2 off, v[12:13], off offset:2140
	scratch_store_dwordx2 off, v[12:13], off offset:2152
	s_mov_b32 s6, s4
	s_mov_b32 s7, s4
	v_mov_b64_e32 v[0:1], s[4:5]
	s_add_i32 s12, s12, s0
	v_mov_b64_e32 v[2:3], s[6:7]
	s_ashr_i32 s0, s12, 3
	v_accvgpr_write_b32 a55, v13
	scratch_store_dword off, v7, off offset:2164
	scratch_store_dwordx4 off, v[0:3], off offset:3184
	scratch_store_dwordx4 off, v[0:3], off offset:3168
	scratch_store_dwordx4 off, v[0:3], off offset:3152
	scratch_store_dwordx4 off, v[0:3], off offset:3136
	scratch_store_dwordx4 off, v[0:3], off offset:3120
	scratch_store_dwordx4 off, v[0:3], off offset:3104
	scratch_store_dwordx4 off, v[0:3], off offset:3088
	scratch_store_dwordx4 off, v[0:3], off offset:3072
	scratch_store_dwordx4 off, v[0:3], off offset:3056
	scratch_store_dwordx4 off, v[0:3], off offset:3040
	scratch_store_dwordx4 off, v[0:3], off offset:3024
	scratch_store_dwordx4 off, v[0:3], off offset:3008
	scratch_store_dwordx4 off, v[0:3], off offset:2992
	scratch_store_dwordx4 off, v[0:3], off offset:2976
	scratch_store_dwordx4 off, v[0:3], off offset:2960
	scratch_store_dwordx4 off, v[0:3], off offset:2944
	scratch_store_dwordx4 off, v[0:3], off offset:2928
	scratch_store_dwordx4 off, v[0:3], off offset:2912
	scratch_store_dwordx4 off, v[0:3], off offset:2896
	scratch_store_dwordx4 off, v[0:3], off offset:2880
	scratch_store_dwordx4 off, v[0:3], off offset:2864
	scratch_store_dwordx4 off, v[0:3], off offset:2848
	scratch_store_dwordx4 off, v[0:3], off offset:2832
	scratch_store_dwordx4 off, v[0:3], off offset:2816
	scratch_store_dwordx4 off, v[0:3], off offset:2800
	scratch_store_dwordx4 off, v[0:3], off offset:2784
	scratch_store_dwordx4 off, v[0:3], off offset:2768
	scratch_store_dwordx4 off, v[0:3], off offset:2752
	scratch_store_dwordx4 off, v[0:3], off offset:2736
	scratch_store_dwordx4 off, v[0:3], off offset:2720
	scratch_store_dwordx4 off, v[0:3], off offset:2704
	scratch_store_dwordx4 off, v[0:3], off offset:2688
	scratch_store_dwordx4 off, v[0:3], off offset:2672
	scratch_store_dwordx4 off, v[0:3], off offset:2656
	scratch_store_dwordx4 off, v[0:3], off offset:2640
	scratch_store_dwordx4 off, v[0:3], off offset:2624
	scratch_store_dwordx4 off, v[0:3], off offset:2608
	scratch_store_dwordx4 off, v[0:3], off offset:2592
	scratch_store_dwordx4 off, v[0:3], off offset:2576
	scratch_store_dwordx4 off, v[0:3], off offset:2560
	scratch_store_dwordx4 off, v[0:3], off offset:2544
	scratch_store_dwordx4 off, v[0:3], off offset:2528
	scratch_store_dwordx4 off, v[0:3], off offset:2512
	scratch_store_dwordx4 off, v[0:3], off offset:2496
	scratch_store_dwordx4 off, v[0:3], off offset:2480
	scratch_store_dwordx4 off, v[0:3], off offset:2464
	scratch_store_dwordx4 off, v[0:3], off offset:2448
	scratch_store_dwordx4 off, v[0:3], off offset:2432
	scratch_store_dwordx4 off, v[0:3], off offset:2416
	scratch_store_dwordx4 off, v[0:3], off offset:2400
	scratch_store_dwordx4 off, v[0:3], off offset:2384
	scratch_store_dwordx4 off, v[0:3], off offset:2368
	scratch_store_dwordx4 off, v[0:3], off offset:2352
	scratch_store_dwordx4 off, v[0:3], off offset:2336
	scratch_store_dwordx4 off, v[0:3], off offset:2320
	scratch_store_dwordx4 off, v[0:3], off offset:2304
	scratch_store_dwordx4 off, v[0:3], off offset:2288
	scratch_store_dwordx4 off, v[0:3], off offset:2272
	scratch_store_dwordx4 off, v[0:3], off offset:2256
	scratch_store_dwordx4 off, v[0:3], off offset:2240
	scratch_store_dwordx4 off, v[0:3], off offset:2224
	scratch_store_dwordx4 off, v[0:3], off offset:2208
	scratch_store_dwordx4 off, v[0:3], off offset:2192
	scratch_store_dwordx4 off, v[0:3], off offset:2176
	s_getpc_b64 s[2:3]
	s_add_u32 s2, s2, _ZNK2ck52BlockwiseGemmXdlops_pipeline_bpreshuffle_bdequant_v3ILNS_26BlockGemmPipelineSchedulerE0ELi256ENS_9f8_fnuz_tENS_7pk_i4_tES2_fNS_16TensorDescriptorINS_5TupleIJNS_5EmbedINS5_IJNS_17integral_constantIiLi8EEENS7_IiLi256EEENS7_IiLi16EEEEEENS5_IJSA_NS7_IiLi128EEENS7_IiLi1EEEEEELb0EEENS_3XorINS5_IJS9_S8_EEELb1EEENS_11PassThroughISA_EENS_7UnMergeINS5_IJS8_SD_EEELb0EEENSJ_IS9_EESK_NSJ_IS8_EENS_21Merge_v3_division_modINS5_IJS9_SD_EEEEESK_EEENS5_IJNS_8SequenceIJLi0EEEENSU_IJLi2ELi1EEEENSU_IJLi3EEEENSU_IJLi5EEEENSU_IJLi4EEEENSU_IJLi6EEEENSU_IJLi7EEEENSU_IJLi9ELi8EEEENSU_IJLi10EEEEEEENS5_IJNSU_IJLi1ELi2ELi3EEEENSU_IJLi4ELi5EEEES10_NSU_IJLi7ELi8EEEENSU_IJLi9EEEES13_NSU_IJLi11EEEENSU_IJLi12EEEENSU_IJLi13EEEEEEENSU_IJLi11ELi12ELi13EEEENS7_IlLl32768EEEEENS4_INS5_IJNSL_INS5_IJS8_SD_SD_NS7_IiLi32EEEEEELb0EEEEEENS5_IJSV_EEENS5_IJNSU_IJLi1ELi2ELi3ELi4EEEEEEES1L_NS7_IlLl256EEEEENS4_INS5_IJSF_SI_SK_SN_SO_SK_SP_SS_SK_NSQ_INS5_IJS8_SA_EEEEENSL_INS5_IJS8_NS7_IiLi2EEESA_EEELb0EEEEEENS5_IJSV_SW_SX_SY_SZ_S10_S11_S12_S13_NSU_IJLi11ELi13EEEES1A_EEENS5_IJS15_S16_S10_S17_S18_S13_S19_S1A_S1B_NSU_IJLi14EEEENSU_IJLi15ELi16ELi17EEEEEEENSU_IJLi15ELi16ELi17ELi14EEEES1E_EENS4_INS5_IJS1I_NSQ_ISM_EES1T_EEENS5_IJSV_NSU_IJLi1ELi3EEEENSU_IJLi2EEEEEEENS5_IJS1L_SY_NSU_IJLi6ELi7ELi8EEEEEEENSU_IJLi6ELi7ELi8ELi5EEEES1N_EELi16ELi32ELi256ELi256ELi128ELi16ELi16ELi8ELi8ELi32ELb0EE3RunILb1ELNS_10TailNumberE1ENS4_INS5_IJNS6_INS5_IJiiEEENS5_IJiSD_EEELb0EEENSL_IS2E_Lb0EEENSJ_IiEEEEENS5_IJSV_S25_NSU_IJLi1EEEEEEENS5_IJNSU_IJLi1ELi2EEEENSU_IJLi3ELi4EEEESY_EEENSU_IJLi3ELi5ELi4EEEElEES1F_NS_35ThreadGroupTensorSliceTransfer_v4r1INS_15ThisThreadBlockILi256EEENS_16tensor_operation12element_wise11PassThroughES2W_LNS_25InMemoryDataOperationEnumE0ENSU_IJLi8ELi256ELi16EEEENSU_IJLi8ELi32ELi1EEEENSU_IJLi1ELi0ELi2EEEES2_S2_RKS2Q_KS1F_S30_NSU_IJLi0ELi1ELi2EEEELi2ELi2ELi16ELi16ELi1ELi1ELb0ELb1ELi2EiEENS_13DynamicBufferILNS_16AddressSpaceEnumE1EKS2_lLb1ELNS_22AmdBufferCoherenceEnumE0EiEENS5_IJNS36_ILS37_2ES2_S1E_Lb1ELS39_0EiEES3B_EEENS5_IJiiiEEENS4_INS5_IJNS6_INS5_IJiiiiEEENS5_IJiiiSD_EEELb0EEEEEES1K_S1M_S1L_lEENS_32ThreadwiseTensorSliceTransfer_v2IS3_S3_RKS3I_KS1O_NSU_IJLi8ELi1ELi1ELi32EEEENSU_IJLi1ELi2ELi0ELi3EEEELi3ELi32ELi0ELb1ELb0ELb0EEENS36_ILS37_1EKS3_lLb1ELS39_0EiEENS5_IJNS_12StaticBufferILS37_4ES3_Li256ELb1EEES3T_EEES3E_NS_25StaticBufferTupleOfVectorILS37_4EfLi64ELi4ELb1ELb0EEEEEvRKT1_RKT2_RT3_RKT4_RT5_RKT6_RKT7_RT8_RKT9_RT10_RKT11_RT12_i@rel32@lo+4
	s_addc_u32 s3, s3, _ZNK2ck52BlockwiseGemmXdlops_pipeline_bpreshuffle_bdequant_v3ILNS_26BlockGemmPipelineSchedulerE0ELi256ENS_9f8_fnuz_tENS_7pk_i4_tES2_fNS_16TensorDescriptorINS_5TupleIJNS_5EmbedINS5_IJNS_17integral_constantIiLi8EEENS7_IiLi256EEENS7_IiLi16EEEEEENS5_IJSA_NS7_IiLi128EEENS7_IiLi1EEEEEELb0EEENS_3XorINS5_IJS9_S8_EEELb1EEENS_11PassThroughISA_EENS_7UnMergeINS5_IJS8_SD_EEELb0EEENSJ_IS9_EESK_NSJ_IS8_EENS_21Merge_v3_division_modINS5_IJS9_SD_EEEEESK_EEENS5_IJNS_8SequenceIJLi0EEEENSU_IJLi2ELi1EEEENSU_IJLi3EEEENSU_IJLi5EEEENSU_IJLi4EEEENSU_IJLi6EEEENSU_IJLi7EEEENSU_IJLi9ELi8EEEENSU_IJLi10EEEEEEENS5_IJNSU_IJLi1ELi2ELi3EEEENSU_IJLi4ELi5EEEES10_NSU_IJLi7ELi8EEEENSU_IJLi9EEEES13_NSU_IJLi11EEEENSU_IJLi12EEEENSU_IJLi13EEEEEEENSU_IJLi11ELi12ELi13EEEENS7_IlLl32768EEEEENS4_INS5_IJNSL_INS5_IJS8_SD_SD_NS7_IiLi32EEEEEELb0EEEEEENS5_IJSV_EEENS5_IJNSU_IJLi1ELi2ELi3ELi4EEEEEEES1L_NS7_IlLl256EEEEENS4_INS5_IJSF_SI_SK_SN_SO_SK_SP_SS_SK_NSQ_INS5_IJS8_SA_EEEEENSL_INS5_IJS8_NS7_IiLi2EEESA_EEELb0EEEEEENS5_IJSV_SW_SX_SY_SZ_S10_S11_S12_S13_NSU_IJLi11ELi13EEEES1A_EEENS5_IJS15_S16_S10_S17_S18_S13_S19_S1A_S1B_NSU_IJLi14EEEENSU_IJLi15ELi16ELi17EEEEEEENSU_IJLi15ELi16ELi17ELi14EEEES1E_EENS4_INS5_IJS1I_NSQ_ISM_EES1T_EEENS5_IJSV_NSU_IJLi1ELi3EEEENSU_IJLi2EEEEEEENS5_IJS1L_SY_NSU_IJLi6ELi7ELi8EEEEEEENSU_IJLi6ELi7ELi8ELi5EEEES1N_EELi16ELi32ELi256ELi256ELi128ELi16ELi16ELi8ELi8ELi32ELb0EE3RunILb1ELNS_10TailNumberE1ENS4_INS5_IJNS6_INS5_IJiiEEENS5_IJiSD_EEELb0EEENSL_IS2E_Lb0EEENSJ_IiEEEEENS5_IJSV_S25_NSU_IJLi1EEEEEEENS5_IJNSU_IJLi1ELi2EEEENSU_IJLi3ELi4EEEESY_EEENSU_IJLi3ELi5ELi4EEEElEES1F_NS_35ThreadGroupTensorSliceTransfer_v4r1INS_15ThisThreadBlockILi256EEENS_16tensor_operation12element_wise11PassThroughES2W_LNS_25InMemoryDataOperationEnumE0ENSU_IJLi8ELi256ELi16EEEENSU_IJLi8ELi32ELi1EEEENSU_IJLi1ELi0ELi2EEEES2_S2_RKS2Q_KS1F_S30_NSU_IJLi0ELi1ELi2EEEELi2ELi2ELi16ELi16ELi1ELi1ELb0ELb1ELi2EiEENS_13DynamicBufferILNS_16AddressSpaceEnumE1EKS2_lLb1ELNS_22AmdBufferCoherenceEnumE0EiEENS5_IJNS36_ILS37_2ES2_S1E_Lb1ELS39_0EiEES3B_EEENS5_IJiiiEEENS4_INS5_IJNS6_INS5_IJiiiiEEENS5_IJiiiSD_EEELb0EEEEEES1K_S1M_S1L_lEENS_32ThreadwiseTensorSliceTransfer_v2IS3_S3_RKS3I_KS1O_NSU_IJLi8ELi1ELi1ELi32EEEENSU_IJLi1ELi2ELi0ELi3EEEELi3ELi32ELi0ELb1ELb0ELb0EEENS36_ILS37_1EKS3_lLb1ELS39_0EiEENS5_IJNS_12StaticBufferILS37_4ES3_Li256ELb1EEES3T_EEES3E_NS_25StaticBufferTupleOfVectorILS37_4EfLi64ELi4ELb1ELb0EEEEEvRKT1_RKT2_RT3_RKT4_RT5_RKT6_RKT7_RT8_RKT9_RT10_RKT11_RT12_i@rel32@hi+12
	v_mov_b32_e32 v0, 0x3b0
	v_mov_b32_e32 v1, s1
	v_mov_b32_e32 v2, 0xc80
	v_mov_b32_e32 v3, s1
	v_mov_b32_e32 v4, 48
	v_mov_b32_e32 v5, s1
	v_mov_b32_e32 v6, 0
	v_mov_b32_e32 v7, s1
	v_mov_b32_e32 v8, 0x368
	v_mov_b32_e32 v9, s1
	v_mov_b32_e32 v10, 0x388
	v_accvgpr_write_b32 a54, v11
	v_mov_b32_e32 v11, s1
	v_mov_b32_e32 v12, 0xcb0
	;; [unrolled: 1-line block ×12, first 2 shown]
	s_swappc_b64 s[30:31], s[2:3]
	s_waitcnt lgkmcnt(0)
	s_barrier
	scratch_load_dwordx4 v[6:9], off, off offset:2176
	v_accvgpr_read_b32 v2, a54
	v_lshrrev_b32_e32 v0, 2, v2
	v_lshlrev_b32_e32 v1, 2, v2
	v_lshrrev_b32_e32 v3, 3, v2
	v_accvgpr_read_b32 v11, a55
	v_and_b32_e32 v0, 12, v0
	v_and_b32_e32 v1, 28, v1
	v_lshrrev_b32_e32 v5, 1, v2
	v_lshlrev_b32_e32 v11, 1, v11
	s_add_i32 s0, s29, s27
	v_lshl_or_b32 v4, s25, 8, v3
	v_and_or_b32 v12, v3, 16, v0
	v_lshl_or_b32 v10, s24, 8, v1
	v_and_b32_e32 v5, 32, v5
	s_lshl_b32 s38, s0, 1
	v_lshlrev_b32_e32 v13, 1, v1
	v_mad_u64_u32 v[0:1], s[0:1], v4, s26, v[10:11]
	v_lshlrev_b32_e32 v12, 6, v12
	v_lshl_or_b32 v1, v3, 6, v13
	v_or3_b32 v3, v5, v12, v11
	v_cmp_gt_i32_e64 s[14:15], s28, v4
	v_cmp_gt_i32_e32 vcc, s29, v10
	v_bfrev_b32_e32 v2, 1
	s_and_b64 s[0:1], s[14:15], vcc
	s_mov_b32 s39, 0x20000
	v_or_b32_e32 v11, 32, v10
	s_lshl_b32 s18, s26, 5
	s_waitcnt vmcnt(0)
	v_cvt_f16_f32_e32 v5, v6
	v_cvt_f16_f32_e32 v6, v7
	;; [unrolled: 1-line block ×4, first 2 shown]
	ds_write_b16 v3, v5
	ds_write_b16 v3, v6 offset:64
	ds_write_b16 v3, v7 offset:128
	;; [unrolled: 1-line block ×3, first 2 shown]
	s_waitcnt lgkmcnt(0)
	s_barrier
	ds_read_b64 v[6:7], v1
	v_lshlrev_b32_e32 v5, 1, v0
	v_cndmask_b32_e64 v8, v2, 0, s[0:1]
	v_add_u32_e32 v8, v8, v5
	s_waitcnt lgkmcnt(0)
	buffer_atomic_pk_add_f16 v6, v8, s[36:39], 0 offen
	buffer_atomic_pk_add_f16 v7, v8, s[36:39], 4 offen
	s_waitcnt lgkmcnt(0)
	s_barrier
	scratch_load_dwordx4 v[6:9], off, off offset:2192
	v_cmp_gt_i32_e64 s[0:1], s29, v11
	s_and_b64 s[2:3], s[14:15], s[0:1]
	v_or_b32_e32 v11, 64, v10
	s_waitcnt vmcnt(0)
	v_cvt_f16_f32_e32 v6, v6
	v_cvt_f16_f32_e32 v7, v7
	v_cvt_f16_f32_e32 v8, v8
	v_cvt_f16_f32_e32 v9, v9
	ds_write_b16 v3, v6
	ds_write_b16 v3, v7 offset:64
	ds_write_b16 v3, v8 offset:128
	ds_write_b16 v3, v9 offset:192
	s_waitcnt lgkmcnt(0)
	s_barrier
	ds_read_b64 v[6:7], v1
	v_cndmask_b32_e64 v8, v2, 0, s[2:3]
	v_add_u32_e32 v8, v5, v8
	s_waitcnt lgkmcnt(0)
	buffer_atomic_pk_add_f16 v6, v8, s[36:39], 0 offen offset:64
	buffer_atomic_pk_add_f16 v7, v8, s[36:39], 4 offen offset:64
	s_waitcnt lgkmcnt(0)
	s_barrier
	scratch_load_dwordx4 v[6:9], off, off offset:2208
	v_cmp_gt_i32_e64 s[2:3], s29, v11
	s_and_b64 s[4:5], s[14:15], s[2:3]
	v_or_b32_e32 v11, 0x60, v10
	s_waitcnt vmcnt(0)
	v_cvt_f16_f32_e32 v6, v6
	v_cvt_f16_f32_e32 v7, v7
	v_cvt_f16_f32_e32 v8, v8
	v_cvt_f16_f32_e32 v9, v9
	ds_write_b16 v3, v6
	ds_write_b16 v3, v7 offset:64
	ds_write_b16 v3, v8 offset:128
	ds_write_b16 v3, v9 offset:192
	s_waitcnt lgkmcnt(0)
	s_barrier
	ds_read_b64 v[6:7], v1
	v_cndmask_b32_e64 v8, v2, 0, s[4:5]
	v_add_u32_e32 v8, v5, v8
	s_waitcnt lgkmcnt(0)
	buffer_atomic_pk_add_f16 v6, v8, s[36:39], 0 offen offset:128
	buffer_atomic_pk_add_f16 v7, v8, s[36:39], 4 offen offset:128
	;; [unrolled: 23-line block ×5, first 2 shown]
	s_waitcnt lgkmcnt(0)
	s_barrier
	scratch_load_dwordx4 v[6:9], off, off offset:2272
	v_cmp_gt_i32_e64 s[10:11], s29, v11
	s_and_b64 s[12:13], s[14:15], s[10:11]
	s_waitcnt vmcnt(0)
	v_cvt_f16_f32_e32 v6, v6
	v_cvt_f16_f32_e32 v7, v7
	;; [unrolled: 1-line block ×4, first 2 shown]
	ds_write_b16 v3, v6
	ds_write_b16 v3, v7 offset:64
	ds_write_b16 v3, v8 offset:128
	;; [unrolled: 1-line block ×3, first 2 shown]
	s_waitcnt lgkmcnt(0)
	s_barrier
	ds_read_b64 v[6:7], v1
	v_cndmask_b32_e64 v8, v2, 0, s[12:13]
	v_add_u32_e32 v5, v5, v8
	s_waitcnt lgkmcnt(0)
	buffer_atomic_pk_add_f16 v6, v5, s[36:39], 0 offen offset:384
	buffer_atomic_pk_add_f16 v7, v5, s[36:39], 4 offen offset:384
	s_waitcnt lgkmcnt(0)
	s_barrier
	scratch_load_dwordx4 v[6:9], off, off offset:2288
	v_or_b32_e32 v5, 0xe0, v10
	v_cmp_gt_i32_e64 s[12:13], s29, v5
	s_and_b64 s[14:15], s[14:15], s[12:13]
	v_add_u32_e32 v10, 0xe0, v0
	v_cndmask_b32_e64 v5, v2, 0, s[14:15]
	v_lshl_add_u32 v5, v10, 1, v5
	v_add_lshl_u32 v20, v10, s18, 1
	v_add_u32_e32 v0, s18, v0
	v_add_u32_e32 v32, s18, v0
	v_lshlrev_b32_e32 v30, 1, v32
	v_add_u32_e32 v33, 0xe0, v32
	v_add_u32_e32 v32, s18, v32
	s_waitcnt vmcnt(0)
	v_cvt_f16_f32_e32 v6, v6
	v_cvt_f16_f32_e32 v7, v7
	;; [unrolled: 1-line block ×4, first 2 shown]
	ds_write_b16 v3, v6
	ds_write_b16 v3, v7 offset:64
	ds_write_b16 v3, v8 offset:128
	ds_write_b16 v3, v9 offset:192
	s_waitcnt lgkmcnt(0)
	s_barrier
	ds_read_b64 v[6:7], v1
	s_waitcnt lgkmcnt(0)
	buffer_atomic_pk_add_f16 v6, v5, s[36:39], 0 offen
	buffer_atomic_pk_add_f16 v7, v5, s[36:39], 4 offen
	s_waitcnt lgkmcnt(0)
	s_barrier
	scratch_load_dwordx4 v[6:9], off, off offset:2416
	v_or_b32_e32 v5, 32, v4
	v_cmp_gt_i32_e64 s[14:15], s28, v5
	s_and_b64 s[16:17], s[14:15], s[12:13]
	s_waitcnt vmcnt(0)
	v_cvt_f16_f32_e32 v5, v6
	v_cvt_f16_f32_e32 v6, v7
	;; [unrolled: 1-line block ×4, first 2 shown]
	ds_write_b16 v3, v5
	ds_write_b16 v3, v6 offset:64
	ds_write_b16 v3, v7 offset:128
	;; [unrolled: 1-line block ×3, first 2 shown]
	s_waitcnt lgkmcnt(0)
	s_barrier
	ds_read_b64 v[6:7], v1
	v_cndmask_b32_e64 v5, v2, 0, s[16:17]
	v_add_u32_e32 v5, v20, v5
	s_waitcnt lgkmcnt(0)
	buffer_atomic_pk_add_f16 v6, v5, s[36:39], 0 offen
	buffer_atomic_pk_add_f16 v7, v5, s[36:39], 4 offen
	s_waitcnt lgkmcnt(0)
	s_barrier
	scratch_load_dwordx4 v[6:9], off, off offset:2400
	v_mov_b32_e32 v5, 0x7fffffc0
	s_and_b64 s[16:17], s[14:15], s[10:11]
	s_waitcnt vmcnt(0)
	v_cvt_f16_f32_e32 v6, v6
	v_cvt_f16_f32_e32 v7, v7
	;; [unrolled: 1-line block ×4, first 2 shown]
	ds_write_b16 v3, v6
	ds_write_b16 v3, v7 offset:64
	ds_write_b16 v3, v8 offset:128
	;; [unrolled: 1-line block ×3, first 2 shown]
	s_waitcnt lgkmcnt(0)
	s_barrier
	ds_read_b64 v[8:9], v1
	v_not_b32_e32 v7, 63
	v_cndmask_b32_e64 v6, v5, v7, s[16:17]
	v_add_u32_e32 v6, v20, v6
	s_waitcnt lgkmcnt(0)
	buffer_atomic_pk_add_f16 v8, v6, s[36:39], 0 offen
	buffer_atomic_pk_add_f16 v9, v6, s[36:39], 4 offen
	s_waitcnt lgkmcnt(0)
	s_barrier
	scratch_load_dwordx4 v[8:11], off, off offset:2384
	v_mov_b32_e32 v6, 0x7fffff80
	s_and_b64 s[16:17], s[14:15], s[8:9]
	s_waitcnt vmcnt(0)
	v_cvt_f16_f32_e32 v8, v8
	v_cvt_f16_f32_e32 v9, v9
	v_cvt_f16_f32_e32 v10, v10
	v_cvt_f16_f32_e32 v11, v11
	ds_write_b16 v3, v8
	ds_write_b16 v3, v9 offset:64
	ds_write_b16 v3, v10 offset:128
	ds_write_b16 v3, v11 offset:192
	s_waitcnt lgkmcnt(0)
	s_barrier
	ds_read_b64 v[10:11], v1
	v_mov_b32_e32 v9, 0xffffff80
	v_cndmask_b32_e64 v8, v6, v9, s[16:17]
	v_add_u32_e32 v8, v20, v8
	s_waitcnt lgkmcnt(0)
	buffer_atomic_pk_add_f16 v10, v8, s[36:39], 0 offen
	buffer_atomic_pk_add_f16 v11, v8, s[36:39], 4 offen
	s_waitcnt lgkmcnt(0)
	s_barrier
	scratch_load_dwordx4 v[10:13], off, off offset:2368
	v_mov_b32_e32 v8, 0x7fffff40
	s_and_b64 s[16:17], s[14:15], s[6:7]
	s_waitcnt vmcnt(0)
	v_cvt_f16_f32_e32 v10, v10
	v_cvt_f16_f32_e32 v11, v11
	v_cvt_f16_f32_e32 v12, v12
	v_cvt_f16_f32_e32 v13, v13
	ds_write_b16 v3, v10
	ds_write_b16 v3, v11 offset:64
	ds_write_b16 v3, v12 offset:128
	ds_write_b16 v3, v13 offset:192
	s_waitcnt lgkmcnt(0)
	s_barrier
	ds_read_b64 v[12:13], v1
	v_mov_b32_e32 v11, 0xffffff40
	;; [unrolled: 23-line block ×4, first 2 shown]
	v_cndmask_b32_e64 v14, v12, v15, s[16:17]
	v_add_u32_e32 v14, v20, v14
	s_waitcnt lgkmcnt(0)
	buffer_atomic_pk_add_f16 v16, v14, s[36:39], 0 offen
	buffer_atomic_pk_add_f16 v17, v14, s[36:39], 4 offen
	s_waitcnt lgkmcnt(0)
	s_barrier
	scratch_load_dwordx4 v[16:19], off, off offset:2320
	v_mov_b32_e32 v14, 0x7ffffe80
	s_and_b64 s[16:17], s[14:15], s[0:1]
	s_and_b64 s[14:15], vcc, s[14:15]
	s_waitcnt vmcnt(0)
	v_cvt_f16_f32_e32 v16, v16
	v_cvt_f16_f32_e32 v17, v17
	;; [unrolled: 1-line block ×4, first 2 shown]
	ds_write_b16 v3, v16
	ds_write_b16 v3, v17 offset:64
	ds_write_b16 v3, v18 offset:128
	;; [unrolled: 1-line block ×3, first 2 shown]
	s_waitcnt lgkmcnt(0)
	s_barrier
	ds_read_b64 v[18:19], v1
	v_mov_b32_e32 v16, 0xfffffe80
	v_cndmask_b32_e64 v17, v14, v16, s[16:17]
	v_add_u32_e32 v17, v20, v17
	s_waitcnt lgkmcnt(0)
	buffer_atomic_pk_add_f16 v18, v17, s[36:39], 0 offen
	buffer_atomic_pk_add_f16 v19, v17, s[36:39], 4 offen
	s_waitcnt lgkmcnt(0)
	s_barrier
	scratch_load_dwordx4 v[18:21], off, off offset:2304
	s_waitcnt vmcnt(0)
	v_cvt_f16_f32_e32 v17, v18
	v_cvt_f16_f32_e32 v18, v19
	;; [unrolled: 1-line block ×4, first 2 shown]
	ds_write_b16 v3, v17
	ds_write_b16 v3, v18 offset:64
	ds_write_b16 v3, v19 offset:128
	;; [unrolled: 1-line block ×3, first 2 shown]
	s_waitcnt lgkmcnt(0)
	s_barrier
	ds_read_b64 v[18:19], v1
	v_cndmask_b32_e64 v17, v2, 0, s[14:15]
	v_lshl_add_u32 v17, v0, 1, v17
	s_waitcnt lgkmcnt(0)
	buffer_atomic_pk_add_f16 v18, v17, s[36:39], 0 offen
	buffer_atomic_pk_add_f16 v19, v17, s[36:39], 4 offen
	s_waitcnt lgkmcnt(0)
	s_barrier
	scratch_load_dwordx4 v[18:21], off, off offset:2432
	v_or_b32_e32 v17, 64, v4
	v_cmp_gt_i32_e64 s[14:15], s28, v17
	s_and_b64 s[16:17], vcc, s[14:15]
	s_waitcnt vmcnt(0)
	v_cvt_f16_f32_e32 v17, v18
	v_cvt_f16_f32_e32 v18, v19
	;; [unrolled: 1-line block ×4, first 2 shown]
	ds_write_b16 v3, v17
	ds_write_b16 v3, v18 offset:64
	ds_write_b16 v3, v19 offset:128
	;; [unrolled: 1-line block ×3, first 2 shown]
	s_waitcnt lgkmcnt(0)
	s_barrier
	ds_read_b64 v[18:19], v1
	v_cndmask_b32_e64 v17, v2, 0, s[16:17]
	v_add_u32_e32 v0, v30, v17
	s_waitcnt lgkmcnt(0)
	buffer_atomic_pk_add_f16 v18, v0, s[36:39], 0 offen
	buffer_atomic_pk_add_f16 v19, v0, s[36:39], 4 offen
	s_waitcnt lgkmcnt(0)
	s_barrier
	scratch_load_dwordx4 v[18:21], off, off offset:2448
	s_and_b64 s[16:17], s[14:15], s[0:1]
	s_waitcnt vmcnt(0)
	v_cvt_f16_f32_e32 v0, v18
	v_cvt_f16_f32_e32 v17, v19
	v_cvt_f16_f32_e32 v18, v20
	v_cvt_f16_f32_e32 v19, v21
	ds_write_b16 v3, v0
	ds_write_b16 v3, v17 offset:64
	ds_write_b16 v3, v18 offset:128
	ds_write_b16 v3, v19 offset:192
	s_waitcnt lgkmcnt(0)
	s_barrier
	ds_read_b64 v[18:19], v1
	v_mov_b32_e32 v17, 0x80000040
	v_cndmask_b32_e64 v0, v17, 64, s[16:17]
	v_add_u32_e32 v0, v30, v0
	s_waitcnt lgkmcnt(0)
	buffer_atomic_pk_add_f16 v18, v0, s[36:39], 0 offen
	buffer_atomic_pk_add_f16 v19, v0, s[36:39], 4 offen
	s_waitcnt lgkmcnt(0)
	s_barrier
	scratch_load_dwordx4 v[18:21], off, off offset:2464
	v_mov_b32_e32 v0, 0x80000080
	s_and_b64 s[16:17], s[14:15], s[2:3]
	s_waitcnt vmcnt(0)
	v_cvt_f16_f32_e32 v18, v18
	v_cvt_f16_f32_e32 v19, v19
	v_cvt_f16_f32_e32 v20, v20
	v_cvt_f16_f32_e32 v21, v21
	ds_write_b16 v3, v18
	ds_write_b16 v3, v19 offset:64
	ds_write_b16 v3, v20 offset:128
	ds_write_b16 v3, v21 offset:192
	s_waitcnt lgkmcnt(0)
	s_barrier
	ds_read_b64 v[20:21], v1
	v_mov_b32_e32 v19, 0x80
	v_cndmask_b32_e64 v18, v0, v19, s[16:17]
	v_add_u32_e32 v18, v30, v18
	s_waitcnt lgkmcnt(0)
	buffer_atomic_pk_add_f16 v20, v18, s[36:39], 0 offen
	buffer_atomic_pk_add_f16 v21, v18, s[36:39], 4 offen
	s_waitcnt lgkmcnt(0)
	s_barrier
	scratch_load_dwordx4 v[20:23], off, off offset:2480
	v_mov_b32_e32 v18, 0x800000c0
	;; [unrolled: 23-line block ×5, first 2 shown]
	s_and_b64 s[16:17], s[14:15], s[10:11]
	s_and_b64 s[14:15], s[14:15], s[12:13]
	s_waitcnt vmcnt(0)
	v_cvt_f16_f32_e32 v26, v26
	v_cvt_f16_f32_e32 v27, v27
	;; [unrolled: 1-line block ×4, first 2 shown]
	ds_write_b16 v3, v26
	ds_write_b16 v3, v27 offset:64
	ds_write_b16 v3, v28 offset:128
	;; [unrolled: 1-line block ×3, first 2 shown]
	s_waitcnt lgkmcnt(0)
	s_barrier
	ds_read_b64 v[28:29], v1
	v_mov_b32_e32 v26, 0x180
	v_cndmask_b32_e64 v27, v24, v26, s[16:17]
	v_add_u32_e32 v27, v30, v27
	s_waitcnt lgkmcnt(0)
	buffer_atomic_pk_add_f16 v28, v27, s[36:39], 0 offen
	buffer_atomic_pk_add_f16 v29, v27, s[36:39], 4 offen
	s_waitcnt lgkmcnt(0)
	s_barrier
	scratch_load_dwordx4 v[28:31], off, off offset:2544
	s_waitcnt vmcnt(0)
	v_cvt_f16_f32_e32 v27, v28
	v_cvt_f16_f32_e32 v28, v29
	;; [unrolled: 1-line block ×4, first 2 shown]
	ds_write_b16 v3, v27
	ds_write_b16 v3, v28 offset:64
	ds_write_b16 v3, v29 offset:128
	;; [unrolled: 1-line block ×3, first 2 shown]
	s_waitcnt lgkmcnt(0)
	s_barrier
	ds_read_b64 v[28:29], v1
	v_cndmask_b32_e64 v27, v2, 0, s[14:15]
	v_lshl_add_u32 v27, v33, 1, v27
	s_waitcnt lgkmcnt(0)
	buffer_atomic_pk_add_f16 v28, v27, s[36:39], 0 offen
	buffer_atomic_pk_add_f16 v29, v27, s[36:39], 4 offen
	s_waitcnt lgkmcnt(0)
	s_barrier
	scratch_load_dwordx4 v[28:31], off, off offset:2672
	v_or_b32_e32 v27, 0x60, v4
	v_cmp_gt_i32_e64 s[14:15], s28, v27
	s_and_b64 s[16:17], s[14:15], s[12:13]
	v_add_lshl_u32 v33, v33, s18, 1
	s_waitcnt vmcnt(0)
	v_cvt_f16_f32_e32 v27, v28
	v_cvt_f16_f32_e32 v28, v29
	v_cvt_f16_f32_e32 v29, v30
	v_cvt_f16_f32_e32 v30, v31
	ds_write_b16 v3, v27
	ds_write_b16 v3, v28 offset:64
	ds_write_b16 v3, v29 offset:128
	ds_write_b16 v3, v30 offset:192
	s_waitcnt lgkmcnt(0)
	s_barrier
	ds_read_b64 v[28:29], v1
	v_cndmask_b32_e64 v27, v2, 0, s[16:17]
	v_add_u32_e32 v27, v33, v27
	s_waitcnt lgkmcnt(0)
	buffer_atomic_pk_add_f16 v28, v27, s[36:39], 0 offen
	buffer_atomic_pk_add_f16 v29, v27, s[36:39], 4 offen
	s_waitcnt lgkmcnt(0)
	s_barrier
	scratch_load_dwordx4 v[28:31], off, off offset:2656
	s_and_b64 s[16:17], s[14:15], s[10:11]
	s_waitcnt vmcnt(0)
	v_cvt_f16_f32_e32 v27, v28
	v_cvt_f16_f32_e32 v28, v29
	v_cvt_f16_f32_e32 v29, v30
	v_cvt_f16_f32_e32 v30, v31
	ds_write_b16 v3, v27
	ds_write_b16 v3, v28 offset:64
	ds_write_b16 v3, v29 offset:128
	ds_write_b16 v3, v30 offset:192
	s_waitcnt lgkmcnt(0)
	s_barrier
	ds_read_b64 v[28:29], v1
	v_cndmask_b32_e64 v27, v5, v7, s[16:17]
	v_add_u32_e32 v27, v33, v27
	s_waitcnt lgkmcnt(0)
	buffer_atomic_pk_add_f16 v28, v27, s[36:39], 0 offen
	buffer_atomic_pk_add_f16 v29, v27, s[36:39], 4 offen
	s_waitcnt lgkmcnt(0)
	s_barrier
	scratch_load_dwordx4 v[28:31], off, off offset:2640
	s_and_b64 s[16:17], s[14:15], s[8:9]
	;; [unrolled: 21-line block ×6, first 2 shown]
	s_and_b64 s[14:15], vcc, s[14:15]
	s_waitcnt vmcnt(0)
	v_cvt_f16_f32_e32 v27, v28
	v_cvt_f16_f32_e32 v28, v29
	;; [unrolled: 1-line block ×4, first 2 shown]
	ds_write_b16 v3, v27
	ds_write_b16 v3, v28 offset:64
	ds_write_b16 v3, v29 offset:128
	;; [unrolled: 1-line block ×3, first 2 shown]
	s_waitcnt lgkmcnt(0)
	s_barrier
	ds_read_b64 v[28:29], v1
	v_cndmask_b32_e64 v27, v14, v16, s[16:17]
	v_add_u32_e32 v27, v33, v27
	s_waitcnt lgkmcnt(0)
	buffer_atomic_pk_add_f16 v28, v27, s[36:39], 0 offen
	buffer_atomic_pk_add_f16 v29, v27, s[36:39], 4 offen
	s_waitcnt lgkmcnt(0)
	s_barrier
	scratch_load_dwordx4 v[28:31], off, off offset:2560
	s_waitcnt vmcnt(0)
	v_cvt_f16_f32_e32 v27, v28
	v_cvt_f16_f32_e32 v28, v29
	;; [unrolled: 1-line block ×4, first 2 shown]
	ds_write_b16 v3, v27
	ds_write_b16 v3, v28 offset:64
	ds_write_b16 v3, v29 offset:128
	;; [unrolled: 1-line block ×3, first 2 shown]
	s_waitcnt lgkmcnt(0)
	s_barrier
	ds_read_b64 v[28:29], v1
	v_cndmask_b32_e64 v27, v2, 0, s[14:15]
	v_lshl_add_u32 v27, v32, 1, v27
	s_waitcnt lgkmcnt(0)
	buffer_atomic_pk_add_f16 v28, v27, s[36:39], 0 offen
	buffer_atomic_pk_add_f16 v29, v27, s[36:39], 4 offen
	s_waitcnt lgkmcnt(0)
	s_barrier
	scratch_load_dwordx4 v[28:31], off, off offset:2688
	v_or_b32_e32 v27, 0x80, v4
	v_cmp_gt_i32_e64 s[14:15], s28, v27
	s_and_b64 s[16:17], vcc, s[14:15]
	v_add_u32_e32 v32, s18, v32
	v_lshlrev_b32_e32 v33, 1, v32
	s_waitcnt vmcnt(0)
	v_cvt_f16_f32_e32 v27, v28
	v_cvt_f16_f32_e32 v28, v29
	v_cvt_f16_f32_e32 v29, v30
	v_cvt_f16_f32_e32 v30, v31
	ds_write_b16 v3, v27
	ds_write_b16 v3, v28 offset:64
	ds_write_b16 v3, v29 offset:128
	ds_write_b16 v3, v30 offset:192
	s_waitcnt lgkmcnt(0)
	s_barrier
	ds_read_b64 v[28:29], v1
	v_cndmask_b32_e64 v27, v2, 0, s[16:17]
	v_add_u32_e32 v27, v33, v27
	s_waitcnt lgkmcnt(0)
	buffer_atomic_pk_add_f16 v28, v27, s[36:39], 0 offen
	buffer_atomic_pk_add_f16 v29, v27, s[36:39], 4 offen
	s_waitcnt lgkmcnt(0)
	s_barrier
	scratch_load_dwordx4 v[28:31], off, off offset:2704
	s_and_b64 s[16:17], s[14:15], s[0:1]
	s_waitcnt vmcnt(0)
	v_cvt_f16_f32_e32 v27, v28
	v_cvt_f16_f32_e32 v28, v29
	v_cvt_f16_f32_e32 v29, v30
	v_cvt_f16_f32_e32 v30, v31
	ds_write_b16 v3, v27
	ds_write_b16 v3, v28 offset:64
	ds_write_b16 v3, v29 offset:128
	ds_write_b16 v3, v30 offset:192
	s_waitcnt lgkmcnt(0)
	s_barrier
	ds_read_b64 v[28:29], v1
	v_cndmask_b32_e64 v27, v17, 64, s[16:17]
	v_add_u32_e32 v27, v33, v27
	s_waitcnt lgkmcnt(0)
	buffer_atomic_pk_add_f16 v28, v27, s[36:39], 0 offen
	buffer_atomic_pk_add_f16 v29, v27, s[36:39], 4 offen
	s_waitcnt lgkmcnt(0)
	s_barrier
	scratch_load_dwordx4 v[28:31], off, off offset:2720
	s_and_b64 s[16:17], s[14:15], s[2:3]
	;; [unrolled: 21-line block ×6, first 2 shown]
	s_and_b64 s[14:15], s[14:15], s[12:13]
	s_waitcnt vmcnt(0)
	v_cvt_f16_f32_e32 v27, v28
	v_cvt_f16_f32_e32 v28, v29
	;; [unrolled: 1-line block ×4, first 2 shown]
	ds_write_b16 v3, v27
	ds_write_b16 v3, v28 offset:64
	ds_write_b16 v3, v29 offset:128
	;; [unrolled: 1-line block ×3, first 2 shown]
	s_waitcnt lgkmcnt(0)
	s_barrier
	ds_read_b64 v[28:29], v1
	v_cndmask_b32_e64 v27, v24, v26, s[16:17]
	v_add_u32_e32 v27, v33, v27
	s_waitcnt lgkmcnt(0)
	buffer_atomic_pk_add_f16 v28, v27, s[36:39], 0 offen
	buffer_atomic_pk_add_f16 v29, v27, s[36:39], 4 offen
	s_waitcnt lgkmcnt(0)
	s_barrier
	scratch_load_dwordx4 v[28:31], off, off offset:2800
	v_add_u32_e32 v33, 0xe0, v32
	v_add_u32_e32 v32, s18, v32
	s_waitcnt vmcnt(0)
	v_cvt_f16_f32_e32 v27, v28
	v_cvt_f16_f32_e32 v28, v29
	;; [unrolled: 1-line block ×4, first 2 shown]
	ds_write_b16 v3, v27
	ds_write_b16 v3, v28 offset:64
	ds_write_b16 v3, v29 offset:128
	;; [unrolled: 1-line block ×3, first 2 shown]
	s_waitcnt lgkmcnt(0)
	s_barrier
	ds_read_b64 v[28:29], v1
	v_cndmask_b32_e64 v27, v2, 0, s[14:15]
	v_lshl_add_u32 v27, v33, 1, v27
	s_waitcnt lgkmcnt(0)
	buffer_atomic_pk_add_f16 v28, v27, s[36:39], 0 offen
	buffer_atomic_pk_add_f16 v29, v27, s[36:39], 4 offen
	s_waitcnt lgkmcnt(0)
	s_barrier
	scratch_load_dwordx4 v[28:31], off, off offset:2928
	v_or_b32_e32 v27, 0xa0, v4
	v_cmp_gt_i32_e64 s[14:15], s28, v27
	s_and_b64 s[16:17], s[14:15], s[12:13]
	v_add_lshl_u32 v33, v33, s18, 1
	s_waitcnt vmcnt(0)
	v_cvt_f16_f32_e32 v27, v28
	v_cvt_f16_f32_e32 v28, v29
	v_cvt_f16_f32_e32 v29, v30
	v_cvt_f16_f32_e32 v30, v31
	ds_write_b16 v3, v27
	ds_write_b16 v3, v28 offset:64
	ds_write_b16 v3, v29 offset:128
	ds_write_b16 v3, v30 offset:192
	s_waitcnt lgkmcnt(0)
	s_barrier
	ds_read_b64 v[28:29], v1
	v_cndmask_b32_e64 v27, v2, 0, s[16:17]
	v_add_u32_e32 v27, v33, v27
	s_waitcnt lgkmcnt(0)
	buffer_atomic_pk_add_f16 v28, v27, s[36:39], 0 offen
	buffer_atomic_pk_add_f16 v29, v27, s[36:39], 4 offen
	s_waitcnt lgkmcnt(0)
	s_barrier
	scratch_load_dwordx4 v[28:31], off, off offset:2912
	s_and_b64 s[16:17], s[14:15], s[10:11]
	s_waitcnt vmcnt(0)
	v_cvt_f16_f32_e32 v27, v28
	v_cvt_f16_f32_e32 v28, v29
	v_cvt_f16_f32_e32 v29, v30
	v_cvt_f16_f32_e32 v30, v31
	ds_write_b16 v3, v27
	ds_write_b16 v3, v28 offset:64
	ds_write_b16 v3, v29 offset:128
	ds_write_b16 v3, v30 offset:192
	s_waitcnt lgkmcnt(0)
	s_barrier
	ds_read_b64 v[28:29], v1
	v_cndmask_b32_e64 v27, v5, v7, s[16:17]
	v_add_u32_e32 v27, v33, v27
	s_waitcnt lgkmcnt(0)
	buffer_atomic_pk_add_f16 v28, v27, s[36:39], 0 offen
	buffer_atomic_pk_add_f16 v29, v27, s[36:39], 4 offen
	s_waitcnt lgkmcnt(0)
	s_barrier
	scratch_load_dwordx4 v[28:31], off, off offset:2896
	s_and_b64 s[16:17], s[14:15], s[8:9]
	;; [unrolled: 21-line block ×6, first 2 shown]
	s_and_b64 s[14:15], vcc, s[14:15]
	s_waitcnt vmcnt(0)
	v_cvt_f16_f32_e32 v27, v28
	v_cvt_f16_f32_e32 v28, v29
	;; [unrolled: 1-line block ×4, first 2 shown]
	ds_write_b16 v3, v27
	ds_write_b16 v3, v28 offset:64
	ds_write_b16 v3, v29 offset:128
	;; [unrolled: 1-line block ×3, first 2 shown]
	s_waitcnt lgkmcnt(0)
	s_barrier
	ds_read_b64 v[28:29], v1
	v_cndmask_b32_e64 v27, v14, v16, s[16:17]
	v_add_u32_e32 v27, v33, v27
	s_waitcnt lgkmcnt(0)
	buffer_atomic_pk_add_f16 v28, v27, s[36:39], 0 offen
	buffer_atomic_pk_add_f16 v29, v27, s[36:39], 4 offen
	s_waitcnt lgkmcnt(0)
	s_barrier
	scratch_load_dwordx4 v[28:31], off, off offset:2816
	s_waitcnt vmcnt(0)
	v_cvt_f16_f32_e32 v27, v28
	v_cvt_f16_f32_e32 v28, v29
	v_cvt_f16_f32_e32 v29, v30
	v_cvt_f16_f32_e32 v30, v31
	ds_write_b16 v3, v27
	ds_write_b16 v3, v28 offset:64
	ds_write_b16 v3, v29 offset:128
	;; [unrolled: 1-line block ×3, first 2 shown]
	s_waitcnt lgkmcnt(0)
	s_barrier
	ds_read_b64 v[28:29], v1
	v_cndmask_b32_e64 v27, v2, 0, s[14:15]
	v_lshl_add_u32 v27, v32, 1, v27
	s_waitcnt lgkmcnt(0)
	buffer_atomic_pk_add_f16 v28, v27, s[36:39], 0 offen
	buffer_atomic_pk_add_f16 v29, v27, s[36:39], 4 offen
	s_waitcnt lgkmcnt(0)
	s_barrier
	scratch_load_dwordx4 v[28:31], off, off offset:2944
	v_or_b32_e32 v27, 0xc0, v4
	v_cmp_gt_i32_e64 s[14:15], s28, v27
	s_and_b64 s[16:17], vcc, s[14:15]
	v_add_u32_e32 v32, s18, v32
	v_lshlrev_b32_e32 v33, 1, v32
	s_waitcnt vmcnt(0)
	v_cvt_f16_f32_e32 v27, v28
	v_cvt_f16_f32_e32 v28, v29
	;; [unrolled: 1-line block ×4, first 2 shown]
	ds_write_b16 v3, v27
	ds_write_b16 v3, v28 offset:64
	ds_write_b16 v3, v29 offset:128
	;; [unrolled: 1-line block ×3, first 2 shown]
	s_waitcnt lgkmcnt(0)
	s_barrier
	ds_read_b64 v[28:29], v1
	v_cndmask_b32_e64 v27, v2, 0, s[16:17]
	v_add_u32_e32 v27, v33, v27
	s_waitcnt lgkmcnt(0)
	buffer_atomic_pk_add_f16 v28, v27, s[36:39], 0 offen
	buffer_atomic_pk_add_f16 v29, v27, s[36:39], 4 offen
	s_waitcnt lgkmcnt(0)
	s_barrier
	scratch_load_dwordx4 v[28:31], off, off offset:2960
	s_and_b64 s[16:17], s[14:15], s[0:1]
	v_cndmask_b32_e64 v17, v17, 64, s[16:17]
	v_add_u32_e32 v17, v33, v17
	s_and_b64 s[16:17], s[14:15], s[2:3]
	v_cndmask_b32_e64 v0, v0, v19, s[16:17]
	v_add_u32_e32 v0, v33, v0
	s_and_b64 s[16:17], s[14:15], s[4:5]
	s_waitcnt vmcnt(0)
	v_cvt_f16_f32_e32 v27, v28
	v_cvt_f16_f32_e32 v28, v29
	;; [unrolled: 1-line block ×4, first 2 shown]
	ds_write_b16 v3, v27
	ds_write_b16 v3, v28 offset:64
	ds_write_b16 v3, v29 offset:128
	;; [unrolled: 1-line block ×3, first 2 shown]
	s_waitcnt lgkmcnt(0)
	s_barrier
	ds_read_b64 v[28:29], v1
	s_waitcnt lgkmcnt(0)
	buffer_atomic_pk_add_f16 v28, v17, s[36:39], 0 offen
	buffer_atomic_pk_add_f16 v29, v17, s[36:39], 4 offen
	s_waitcnt lgkmcnt(0)
	s_barrier
	scratch_load_dwordx4 v[28:31], off, off offset:2976
	s_waitcnt vmcnt(0)
	v_cvt_f16_f32_e32 v17, v28
	v_cvt_f16_f32_e32 v27, v29
	;; [unrolled: 1-line block ×4, first 2 shown]
	ds_write_b16 v3, v17
	ds_write_b16 v3, v27 offset:64
	ds_write_b16 v3, v28 offset:128
	;; [unrolled: 1-line block ×3, first 2 shown]
	s_waitcnt lgkmcnt(0)
	s_barrier
	ds_read_b64 v[28:29], v1
	s_waitcnt lgkmcnt(0)
	buffer_atomic_pk_add_f16 v28, v0, s[36:39], 0 offen
	buffer_atomic_pk_add_f16 v29, v0, s[36:39], 4 offen
	s_waitcnt lgkmcnt(0)
	s_barrier
	scratch_load_dwordx4 v[28:31], off, off offset:2992
	s_waitcnt vmcnt(0)
	v_cvt_f16_f32_e32 v0, v28
	v_cvt_f16_f32_e32 v17, v29
	v_cvt_f16_f32_e32 v19, v30
	v_cvt_f16_f32_e32 v27, v31
	ds_write_b16 v3, v0
	ds_write_b16 v3, v17 offset:64
	ds_write_b16 v3, v19 offset:128
	ds_write_b16 v3, v27 offset:192
	s_waitcnt lgkmcnt(0)
	s_barrier
	ds_read_b64 v[28:29], v1
	v_cndmask_b32_e64 v0, v18, v21, s[16:17]
	v_add_u32_e32 v0, v33, v0
	s_waitcnt lgkmcnt(0)
	buffer_atomic_pk_add_f16 v28, v0, s[36:39], 0 offen
	buffer_atomic_pk_add_f16 v29, v0, s[36:39], 4 offen
	s_waitcnt lgkmcnt(0)
	s_barrier
	scratch_load_dwordx4 v[28:31], off, off offset:3008
	s_and_b64 s[16:17], s[14:15], s[6:7]
	s_waitcnt vmcnt(0)
	v_cvt_f16_f32_e32 v0, v28
	v_cvt_f16_f32_e32 v17, v29
	v_cvt_f16_f32_e32 v18, v30
	v_cvt_f16_f32_e32 v19, v31
	ds_write_b16 v3, v0
	ds_write_b16 v3, v17 offset:64
	ds_write_b16 v3, v18 offset:128
	ds_write_b16 v3, v19 offset:192
	s_waitcnt lgkmcnt(0)
	s_barrier
	ds_read_b64 v[18:19], v1
	v_cndmask_b32_e64 v0, v20, v23, s[16:17]
	v_add_u32_e32 v0, v33, v0
	s_waitcnt lgkmcnt(0)
	buffer_atomic_pk_add_f16 v18, v0, s[36:39], 0 offen
	buffer_atomic_pk_add_f16 v19, v0, s[36:39], 4 offen
	s_waitcnt lgkmcnt(0)
	s_barrier
	scratch_load_dwordx4 v[18:21], off, off offset:3024
	s_and_b64 s[16:17], s[14:15], s[8:9]
	;; [unrolled: 21-line block ×3, first 2 shown]
	s_and_b64 s[14:15], s[14:15], s[12:13]
	s_waitcnt vmcnt(0)
	v_cvt_f16_f32_e32 v0, v18
	v_cvt_f16_f32_e32 v17, v19
	;; [unrolled: 1-line block ×4, first 2 shown]
	ds_write_b16 v3, v0
	ds_write_b16 v3, v17 offset:64
	ds_write_b16 v3, v18 offset:128
	;; [unrolled: 1-line block ×3, first 2 shown]
	s_waitcnt lgkmcnt(0)
	s_barrier
	ds_read_b64 v[18:19], v1
	v_cndmask_b32_e64 v0, v24, v26, s[16:17]
	v_add_u32_e32 v0, v33, v0
	s_waitcnt lgkmcnt(0)
	buffer_atomic_pk_add_f16 v18, v0, s[36:39], 0 offen
	buffer_atomic_pk_add_f16 v19, v0, s[36:39], 4 offen
	s_waitcnt lgkmcnt(0)
	s_barrier
	scratch_load_dwordx4 v[18:21], off, off offset:3056
	s_waitcnt vmcnt(0)
	v_cvt_f16_f32_e32 v0, v18
	v_cvt_f16_f32_e32 v17, v19
	;; [unrolled: 1-line block ×4, first 2 shown]
	ds_write_b16 v3, v0
	ds_write_b16 v3, v17 offset:64
	ds_write_b16 v3, v18 offset:128
	;; [unrolled: 1-line block ×3, first 2 shown]
	s_waitcnt lgkmcnt(0)
	s_barrier
	ds_read_b64 v[18:19], v1
	v_cndmask_b32_e64 v0, v2, 0, s[14:15]
	v_add_u32_e32 v17, 0xe0, v32
	v_lshl_add_u32 v0, v17, 1, v0
	s_waitcnt lgkmcnt(0)
	buffer_atomic_pk_add_f16 v18, v0, s[36:39], 0 offen
	buffer_atomic_pk_add_f16 v19, v0, s[36:39], 4 offen
	s_waitcnt lgkmcnt(0)
	s_barrier
	scratch_load_dwordx4 v[18:21], off, off offset:3184
	v_or_b32_e32 v0, 0xe0, v4
	v_cmp_gt_i32_e64 s[14:15], s28, v0
	s_and_b64 s[12:13], s[14:15], s[12:13]
	v_add_lshl_u32 v17, v17, s18, 1
	s_and_b64 s[10:11], s[14:15], s[10:11]
	s_and_b64 s[8:9], s[14:15], s[8:9]
	;; [unrolled: 1-line block ×6, first 2 shown]
	s_waitcnt vmcnt(0)
	v_cvt_f16_f32_e32 v0, v18
	v_cvt_f16_f32_e32 v4, v19
	v_cvt_f16_f32_e32 v18, v20
	v_cvt_f16_f32_e32 v19, v21
	ds_write_b16 v3, v0
	ds_write_b16 v3, v4 offset:64
	ds_write_b16 v3, v18 offset:128
	ds_write_b16 v3, v19 offset:192
	s_waitcnt lgkmcnt(0)
	s_barrier
	ds_read_b64 v[18:19], v1
	v_cndmask_b32_e64 v0, v2, 0, s[12:13]
	v_add_u32_e32 v0, v17, v0
	s_waitcnt lgkmcnt(0)
	buffer_atomic_pk_add_f16 v18, v0, s[36:39], 0 offen
	buffer_atomic_pk_add_f16 v19, v0, s[36:39], 4 offen
	s_waitcnt lgkmcnt(0)
	s_barrier
	scratch_load_dwordx4 v[18:21], off, off offset:3168
	s_waitcnt vmcnt(0)
	v_cvt_f16_f32_e32 v0, v18
	v_cvt_f16_f32_e32 v4, v19
	v_cvt_f16_f32_e32 v18, v20
	v_cvt_f16_f32_e32 v19, v21
	ds_write_b16 v3, v0
	ds_write_b16 v3, v4 offset:64
	ds_write_b16 v3, v18 offset:128
	ds_write_b16 v3, v19 offset:192
	s_waitcnt lgkmcnt(0)
	s_barrier
	ds_read_b64 v[18:19], v1
	v_cndmask_b32_e64 v0, v5, v7, s[10:11]
	v_add_u32_e32 v0, v17, v0
	s_waitcnt lgkmcnt(0)
	buffer_atomic_pk_add_f16 v18, v0, s[36:39], 0 offen
	buffer_atomic_pk_add_f16 v19, v0, s[36:39], 4 offen
	s_waitcnt lgkmcnt(0)
	s_barrier
	scratch_load_dwordx4 v[18:21], off, off offset:3152
	;; [unrolled: 20-line block ×7, first 2 shown]
	s_and_b64 s[0:1], vcc, s[14:15]
	v_cndmask_b32_e64 v2, v2, 0, s[0:1]
	s_waitcnt vmcnt(0)
	v_cvt_f16_f32_e32 v0, v4
	v_cvt_f16_f32_e32 v4, v5
	;; [unrolled: 1-line block ×4, first 2 shown]
	ds_write_b16 v3, v0
	ds_write_b16 v3, v4 offset:64
	ds_write_b16 v3, v5 offset:128
	;; [unrolled: 1-line block ×3, first 2 shown]
	s_waitcnt lgkmcnt(0)
	s_barrier
	ds_read_b64 v[0:1], v1
	v_add_u32_e32 v3, s18, v32
	v_lshl_add_u32 v2, v3, 1, v2
	s_waitcnt lgkmcnt(0)
	buffer_atomic_pk_add_f16 v0, v2, s[36:39], 0 offen
	buffer_atomic_pk_add_f16 v1, v2, s[36:39], 4 offen
	s_endpgm
	.section	.rodata,"a",@progbits
	.p2align	6, 0x0
	.amdhsa_kernel _ZN2ck45kernel_gemm_xdl_cshuffle_v3_b_preshuffle_2ldsINS_41GridwiseGemm_xdl_cshuffle_v3_b_preshuffleINS_13tensor_layout4gemm8RowMajorENS3_11ColumnMajorES4_NS_9f8_fnuz_tENS_7pk_i4_tEfDF16_DF16_NS_16tensor_operation12element_wise11PassThroughESA_SA_LNS8_6device18GemmSpecializationE0ELi256ELi256ELi256ELi128ELi16ELi32ELi16ELi16ELi8ELi8ENS_8SequenceIJLi8ELi32ELi1EEEENSD_IJLi1ELi0ELi2EEEESF_Li2ELi16ELi16ELb0ELi0ENSD_IJLi4ELi64ELi1EEEESF_SF_Li2ELi32ELi32ELb0ELi0ELi1ELi1ENSD_IJLi1ELi32ELi1ELi8EEEELi4ELNS_26BlockGemmPipelineSchedulerE0ELNS_24BlockGemmPipelineVersionE2ES6_S6_Lb0ELb0ELi0EEELb1ELNS_25InMemoryDataOperationEnumE1ELi1ELNS_10TailNumberE1EEEvNT_8ArgumentE
		.amdhsa_group_segment_fixed_size 65536
		.amdhsa_private_segment_fixed_size 3312
		.amdhsa_kernarg_size 112
		.amdhsa_user_sgpr_count 2
		.amdhsa_user_sgpr_dispatch_ptr 0
		.amdhsa_user_sgpr_queue_ptr 0
		.amdhsa_user_sgpr_kernarg_segment_ptr 1
		.amdhsa_user_sgpr_dispatch_id 0
		.amdhsa_user_sgpr_kernarg_preload_length 0
		.amdhsa_user_sgpr_kernarg_preload_offset 0
		.amdhsa_user_sgpr_private_segment_size 0
		.amdhsa_uses_dynamic_stack 0
		.amdhsa_enable_private_segment 1
		.amdhsa_system_sgpr_workgroup_id_x 1
		.amdhsa_system_sgpr_workgroup_id_y 0
		.amdhsa_system_sgpr_workgroup_id_z 1
		.amdhsa_system_sgpr_workgroup_info 0
		.amdhsa_system_vgpr_workitem_id 0
		.amdhsa_next_free_vgpr 312
		.amdhsa_next_free_sgpr 96
		.amdhsa_accum_offset 256
		.amdhsa_reserve_vcc 1
		.amdhsa_float_round_mode_32 0
		.amdhsa_float_round_mode_16_64 0
		.amdhsa_float_denorm_mode_32 3
		.amdhsa_float_denorm_mode_16_64 3
		.amdhsa_dx10_clamp 1
		.amdhsa_ieee_mode 1
		.amdhsa_fp16_overflow 0
		.amdhsa_tg_split 0
		.amdhsa_exception_fp_ieee_invalid_op 0
		.amdhsa_exception_fp_denorm_src 0
		.amdhsa_exception_fp_ieee_div_zero 0
		.amdhsa_exception_fp_ieee_overflow 0
		.amdhsa_exception_fp_ieee_underflow 0
		.amdhsa_exception_fp_ieee_inexact 0
		.amdhsa_exception_int_div_zero 0
	.end_amdhsa_kernel
	.section	.text._ZN2ck45kernel_gemm_xdl_cshuffle_v3_b_preshuffle_2ldsINS_41GridwiseGemm_xdl_cshuffle_v3_b_preshuffleINS_13tensor_layout4gemm8RowMajorENS3_11ColumnMajorES4_NS_9f8_fnuz_tENS_7pk_i4_tEfDF16_DF16_NS_16tensor_operation12element_wise11PassThroughESA_SA_LNS8_6device18GemmSpecializationE0ELi256ELi256ELi256ELi128ELi16ELi32ELi16ELi16ELi8ELi8ENS_8SequenceIJLi8ELi32ELi1EEEENSD_IJLi1ELi0ELi2EEEESF_Li2ELi16ELi16ELb0ELi0ENSD_IJLi4ELi64ELi1EEEESF_SF_Li2ELi32ELi32ELb0ELi0ELi1ELi1ENSD_IJLi1ELi32ELi1ELi8EEEELi4ELNS_26BlockGemmPipelineSchedulerE0ELNS_24BlockGemmPipelineVersionE2ES6_S6_Lb0ELb0ELi0EEELb1ELNS_25InMemoryDataOperationEnumE1ELi1ELNS_10TailNumberE1EEEvNT_8ArgumentE,"axG",@progbits,_ZN2ck45kernel_gemm_xdl_cshuffle_v3_b_preshuffle_2ldsINS_41GridwiseGemm_xdl_cshuffle_v3_b_preshuffleINS_13tensor_layout4gemm8RowMajorENS3_11ColumnMajorES4_NS_9f8_fnuz_tENS_7pk_i4_tEfDF16_DF16_NS_16tensor_operation12element_wise11PassThroughESA_SA_LNS8_6device18GemmSpecializationE0ELi256ELi256ELi256ELi128ELi16ELi32ELi16ELi16ELi8ELi8ENS_8SequenceIJLi8ELi32ELi1EEEENSD_IJLi1ELi0ELi2EEEESF_Li2ELi16ELi16ELb0ELi0ENSD_IJLi4ELi64ELi1EEEESF_SF_Li2ELi32ELi32ELb0ELi0ELi1ELi1ENSD_IJLi1ELi32ELi1ELi8EEEELi4ELNS_26BlockGemmPipelineSchedulerE0ELNS_24BlockGemmPipelineVersionE2ES6_S6_Lb0ELb0ELi0EEELb1ELNS_25InMemoryDataOperationEnumE1ELi1ELNS_10TailNumberE1EEEvNT_8ArgumentE,comdat
.Lfunc_end4:
	.size	_ZN2ck45kernel_gemm_xdl_cshuffle_v3_b_preshuffle_2ldsINS_41GridwiseGemm_xdl_cshuffle_v3_b_preshuffleINS_13tensor_layout4gemm8RowMajorENS3_11ColumnMajorES4_NS_9f8_fnuz_tENS_7pk_i4_tEfDF16_DF16_NS_16tensor_operation12element_wise11PassThroughESA_SA_LNS8_6device18GemmSpecializationE0ELi256ELi256ELi256ELi128ELi16ELi32ELi16ELi16ELi8ELi8ENS_8SequenceIJLi8ELi32ELi1EEEENSD_IJLi1ELi0ELi2EEEESF_Li2ELi16ELi16ELb0ELi0ENSD_IJLi4ELi64ELi1EEEESF_SF_Li2ELi32ELi32ELb0ELi0ELi1ELi1ENSD_IJLi1ELi32ELi1ELi8EEEELi4ELNS_26BlockGemmPipelineSchedulerE0ELNS_24BlockGemmPipelineVersionE2ES6_S6_Lb0ELb0ELi0EEELb1ELNS_25InMemoryDataOperationEnumE1ELi1ELNS_10TailNumberE1EEEvNT_8ArgumentE, .Lfunc_end4-_ZN2ck45kernel_gemm_xdl_cshuffle_v3_b_preshuffle_2ldsINS_41GridwiseGemm_xdl_cshuffle_v3_b_preshuffleINS_13tensor_layout4gemm8RowMajorENS3_11ColumnMajorES4_NS_9f8_fnuz_tENS_7pk_i4_tEfDF16_DF16_NS_16tensor_operation12element_wise11PassThroughESA_SA_LNS8_6device18GemmSpecializationE0ELi256ELi256ELi256ELi128ELi16ELi32ELi16ELi16ELi8ELi8ENS_8SequenceIJLi8ELi32ELi1EEEENSD_IJLi1ELi0ELi2EEEESF_Li2ELi16ELi16ELb0ELi0ENSD_IJLi4ELi64ELi1EEEESF_SF_Li2ELi32ELi32ELb0ELi0ELi1ELi1ENSD_IJLi1ELi32ELi1ELi8EEEELi4ELNS_26BlockGemmPipelineSchedulerE0ELNS_24BlockGemmPipelineVersionE2ES6_S6_Lb0ELb0ELi0EEELb1ELNS_25InMemoryDataOperationEnumE1ELi1ELNS_10TailNumberE1EEEvNT_8ArgumentE
                                        ; -- End function
	.set _ZN2ck45kernel_gemm_xdl_cshuffle_v3_b_preshuffle_2ldsINS_41GridwiseGemm_xdl_cshuffle_v3_b_preshuffleINS_13tensor_layout4gemm8RowMajorENS3_11ColumnMajorES4_NS_9f8_fnuz_tENS_7pk_i4_tEfDF16_DF16_NS_16tensor_operation12element_wise11PassThroughESA_SA_LNS8_6device18GemmSpecializationE0ELi256ELi256ELi256ELi128ELi16ELi32ELi16ELi16ELi8ELi8ENS_8SequenceIJLi8ELi32ELi1EEEENSD_IJLi1ELi0ELi2EEEESF_Li2ELi16ELi16ELb0ELi0ENSD_IJLi4ELi64ELi1EEEESF_SF_Li2ELi32ELi32ELb0ELi0ELi1ELi1ENSD_IJLi1ELi32ELi1ELi8EEEELi4ELNS_26BlockGemmPipelineSchedulerE0ELNS_24BlockGemmPipelineVersionE2ES6_S6_Lb0ELb0ELi0EEELb1ELNS_25InMemoryDataOperationEnumE1ELi1ELNS_10TailNumberE1EEEvNT_8ArgumentE.num_vgpr, max(34, .L_ZNK2ck52BlockwiseGemmXdlops_pipeline_bpreshuffle_bdequant_v3ILNS_26BlockGemmPipelineSchedulerE0ELi256ENS_9f8_fnuz_tENS_7pk_i4_tES2_fNS_16TensorDescriptorINS_5TupleIJNS_5EmbedINS5_IJNS_17integral_constantIiLi8EEENS7_IiLi256EEENS7_IiLi16EEEEEENS5_IJSA_NS7_IiLi128EEENS7_IiLi1EEEEEELb0EEENS_3XorINS5_IJS9_S8_EEELb1EEENS_11PassThroughISA_EENS_7UnMergeINS5_IJS8_SD_EEELb0EEENSJ_IS9_EESK_NSJ_IS8_EENS_21Merge_v3_division_modINS5_IJS9_SD_EEEEESK_EEENS5_IJNS_8SequenceIJLi0EEEENSU_IJLi2ELi1EEEENSU_IJLi3EEEENSU_IJLi5EEEENSU_IJLi4EEEENSU_IJLi6EEEENSU_IJLi7EEEENSU_IJLi9ELi8EEEENSU_IJLi10EEEEEEENS5_IJNSU_IJLi1ELi2ELi3EEEENSU_IJLi4ELi5EEEES10_NSU_IJLi7ELi8EEEENSU_IJLi9EEEES13_NSU_IJLi11EEEENSU_IJLi12EEEENSU_IJLi13EEEEEEENSU_IJLi11ELi12ELi13EEEENS7_IlLl32768EEEEENS4_INS5_IJNSL_INS5_IJS8_SD_SD_NS7_IiLi32EEEEEELb0EEEEEENS5_IJSV_EEENS5_IJNSU_IJLi1ELi2ELi3ELi4EEEEEEES1L_NS7_IlLl256EEEEENS4_INS5_IJSF_SI_SK_SN_SO_SK_SP_SS_SK_NSQ_INS5_IJS8_SA_EEEEENSL_INS5_IJS8_NS7_IiLi2EEESA_EEELb0EEEEEENS5_IJSV_SW_SX_SY_SZ_S10_S11_S12_S13_NSU_IJLi11ELi13EEEES1A_EEENS5_IJS15_S16_S10_S17_S18_S13_S19_S1A_S1B_NSU_IJLi14EEEENSU_IJLi15ELi16ELi17EEEEEEENSU_IJLi15ELi16ELi17ELi14EEEES1E_EENS4_INS5_IJS1I_NSQ_ISM_EES1T_EEENS5_IJSV_NSU_IJLi1ELi3EEEENSU_IJLi2EEEEEEENS5_IJS1L_SY_NSU_IJLi6ELi7ELi8EEEEEEENSU_IJLi6ELi7ELi8ELi5EEEES1N_EELi16ELi32ELi256ELi256ELi128ELi16ELi16ELi8ELi8ELi32ELb0EE3RunILb1ELNS_10TailNumberE1ENS4_INS5_IJNS6_INS5_IJiiEEENS5_IJiSD_EEELb0EEENSL_IS2E_Lb0EEENSJ_IiEEEEENS5_IJSV_S25_NSU_IJLi1EEEEEEENS5_IJNSU_IJLi1ELi2EEEENSU_IJLi3ELi4EEEESY_EEENSU_IJLi3ELi5ELi4EEEElEES1F_NS_35ThreadGroupTensorSliceTransfer_v4r1INS_15ThisThreadBlockILi256EEENS_16tensor_operation12element_wise11PassThroughES2W_LNS_25InMemoryDataOperationEnumE0ENSU_IJLi8ELi256ELi16EEEENSU_IJLi8ELi32ELi1EEEENSU_IJLi1ELi0ELi2EEEES2_S2_RKS2Q_KS1F_S30_NSU_IJLi0ELi1ELi2EEEELi2ELi2ELi16ELi16ELi1ELi1ELb0ELb1ELi2EiEENS_13DynamicBufferILNS_16AddressSpaceEnumE1EKS2_lLb1ELNS_22AmdBufferCoherenceEnumE0EiEENS5_IJNS36_ILS37_2ES2_S1E_Lb1ELS39_0EiEES3B_EEENS5_IJiiiEEENS4_INS5_IJNS6_INS5_IJiiiiEEENS5_IJiiiSD_EEELb0EEEEEES1K_S1M_S1L_lEENS_32ThreadwiseTensorSliceTransfer_v2IS3_S3_RKS3I_KS1O_NSU_IJLi8ELi1ELi1ELi32EEEENSU_IJLi1ELi2ELi0ELi3EEEELi3ELi32ELi0ELb1ELb0ELb0EEENS36_ILS37_1EKS3_lLb1ELS39_0EiEENS5_IJNS_12StaticBufferILS37_4ES3_Li256ELb1EEES3T_EEES3E_NS_25StaticBufferTupleOfVectorILS37_4EfLi64ELi4ELb1ELb0EEEEEvRKT1_RKT2_RT3_RKT4_RT5_RKT6_RKT7_RT8_RKT9_RT10_RKT11_RT12_i.num_vgpr)
	.set _ZN2ck45kernel_gemm_xdl_cshuffle_v3_b_preshuffle_2ldsINS_41GridwiseGemm_xdl_cshuffle_v3_b_preshuffleINS_13tensor_layout4gemm8RowMajorENS3_11ColumnMajorES4_NS_9f8_fnuz_tENS_7pk_i4_tEfDF16_DF16_NS_16tensor_operation12element_wise11PassThroughESA_SA_LNS8_6device18GemmSpecializationE0ELi256ELi256ELi256ELi128ELi16ELi32ELi16ELi16ELi8ELi8ENS_8SequenceIJLi8ELi32ELi1EEEENSD_IJLi1ELi0ELi2EEEESF_Li2ELi16ELi16ELb0ELi0ENSD_IJLi4ELi64ELi1EEEESF_SF_Li2ELi32ELi32ELb0ELi0ELi1ELi1ENSD_IJLi1ELi32ELi1ELi8EEEELi4ELNS_26BlockGemmPipelineSchedulerE0ELNS_24BlockGemmPipelineVersionE2ES6_S6_Lb0ELb0ELi0EEELb1ELNS_25InMemoryDataOperationEnumE1ELi1ELNS_10TailNumberE1EEEvNT_8ArgumentE.num_agpr, max(56, .L_ZNK2ck52BlockwiseGemmXdlops_pipeline_bpreshuffle_bdequant_v3ILNS_26BlockGemmPipelineSchedulerE0ELi256ENS_9f8_fnuz_tENS_7pk_i4_tES2_fNS_16TensorDescriptorINS_5TupleIJNS_5EmbedINS5_IJNS_17integral_constantIiLi8EEENS7_IiLi256EEENS7_IiLi16EEEEEENS5_IJSA_NS7_IiLi128EEENS7_IiLi1EEEEEELb0EEENS_3XorINS5_IJS9_S8_EEELb1EEENS_11PassThroughISA_EENS_7UnMergeINS5_IJS8_SD_EEELb0EEENSJ_IS9_EESK_NSJ_IS8_EENS_21Merge_v3_division_modINS5_IJS9_SD_EEEEESK_EEENS5_IJNS_8SequenceIJLi0EEEENSU_IJLi2ELi1EEEENSU_IJLi3EEEENSU_IJLi5EEEENSU_IJLi4EEEENSU_IJLi6EEEENSU_IJLi7EEEENSU_IJLi9ELi8EEEENSU_IJLi10EEEEEEENS5_IJNSU_IJLi1ELi2ELi3EEEENSU_IJLi4ELi5EEEES10_NSU_IJLi7ELi8EEEENSU_IJLi9EEEES13_NSU_IJLi11EEEENSU_IJLi12EEEENSU_IJLi13EEEEEEENSU_IJLi11ELi12ELi13EEEENS7_IlLl32768EEEEENS4_INS5_IJNSL_INS5_IJS8_SD_SD_NS7_IiLi32EEEEEELb0EEEEEENS5_IJSV_EEENS5_IJNSU_IJLi1ELi2ELi3ELi4EEEEEEES1L_NS7_IlLl256EEEEENS4_INS5_IJSF_SI_SK_SN_SO_SK_SP_SS_SK_NSQ_INS5_IJS8_SA_EEEEENSL_INS5_IJS8_NS7_IiLi2EEESA_EEELb0EEEEEENS5_IJSV_SW_SX_SY_SZ_S10_S11_S12_S13_NSU_IJLi11ELi13EEEES1A_EEENS5_IJS15_S16_S10_S17_S18_S13_S19_S1A_S1B_NSU_IJLi14EEEENSU_IJLi15ELi16ELi17EEEEEEENSU_IJLi15ELi16ELi17ELi14EEEES1E_EENS4_INS5_IJS1I_NSQ_ISM_EES1T_EEENS5_IJSV_NSU_IJLi1ELi3EEEENSU_IJLi2EEEEEEENS5_IJS1L_SY_NSU_IJLi6ELi7ELi8EEEEEEENSU_IJLi6ELi7ELi8ELi5EEEES1N_EELi16ELi32ELi256ELi256ELi128ELi16ELi16ELi8ELi8ELi32ELb0EE3RunILb1ELNS_10TailNumberE1ENS4_INS5_IJNS6_INS5_IJiiEEENS5_IJiSD_EEELb0EEENSL_IS2E_Lb0EEENSJ_IiEEEEENS5_IJSV_S25_NSU_IJLi1EEEEEEENS5_IJNSU_IJLi1ELi2EEEENSU_IJLi3ELi4EEEESY_EEENSU_IJLi3ELi5ELi4EEEElEES1F_NS_35ThreadGroupTensorSliceTransfer_v4r1INS_15ThisThreadBlockILi256EEENS_16tensor_operation12element_wise11PassThroughES2W_LNS_25InMemoryDataOperationEnumE0ENSU_IJLi8ELi256ELi16EEEENSU_IJLi8ELi32ELi1EEEENSU_IJLi1ELi0ELi2EEEES2_S2_RKS2Q_KS1F_S30_NSU_IJLi0ELi1ELi2EEEELi2ELi2ELi16ELi16ELi1ELi1ELb0ELb1ELi2EiEENS_13DynamicBufferILNS_16AddressSpaceEnumE1EKS2_lLb1ELNS_22AmdBufferCoherenceEnumE0EiEENS5_IJNS36_ILS37_2ES2_S1E_Lb1ELS39_0EiEES3B_EEENS5_IJiiiEEENS4_INS5_IJNS6_INS5_IJiiiiEEENS5_IJiiiSD_EEELb0EEEEEES1K_S1M_S1L_lEENS_32ThreadwiseTensorSliceTransfer_v2IS3_S3_RKS3I_KS1O_NSU_IJLi8ELi1ELi1ELi32EEEENSU_IJLi1ELi2ELi0ELi3EEEELi3ELi32ELi0ELb1ELb0ELb0EEENS36_ILS37_1EKS3_lLb1ELS39_0EiEENS5_IJNS_12StaticBufferILS37_4ES3_Li256ELb1EEES3T_EEES3E_NS_25StaticBufferTupleOfVectorILS37_4EfLi64ELi4ELb1ELb0EEEEEvRKT1_RKT2_RT3_RKT4_RT5_RKT6_RKT7_RT8_RKT9_RT10_RKT11_RT12_i.num_agpr)
	.set _ZN2ck45kernel_gemm_xdl_cshuffle_v3_b_preshuffle_2ldsINS_41GridwiseGemm_xdl_cshuffle_v3_b_preshuffleINS_13tensor_layout4gemm8RowMajorENS3_11ColumnMajorES4_NS_9f8_fnuz_tENS_7pk_i4_tEfDF16_DF16_NS_16tensor_operation12element_wise11PassThroughESA_SA_LNS8_6device18GemmSpecializationE0ELi256ELi256ELi256ELi128ELi16ELi32ELi16ELi16ELi8ELi8ENS_8SequenceIJLi8ELi32ELi1EEEENSD_IJLi1ELi0ELi2EEEESF_Li2ELi16ELi16ELb0ELi0ENSD_IJLi4ELi64ELi1EEEESF_SF_Li2ELi32ELi32ELb0ELi0ELi1ELi1ENSD_IJLi1ELi32ELi1ELi8EEEELi4ELNS_26BlockGemmPipelineSchedulerE0ELNS_24BlockGemmPipelineVersionE2ES6_S6_Lb0ELb0ELi0EEELb1ELNS_25InMemoryDataOperationEnumE1ELi1ELNS_10TailNumberE1EEEvNT_8ArgumentE.numbered_sgpr, max(40, .L_ZNK2ck52BlockwiseGemmXdlops_pipeline_bpreshuffle_bdequant_v3ILNS_26BlockGemmPipelineSchedulerE0ELi256ENS_9f8_fnuz_tENS_7pk_i4_tES2_fNS_16TensorDescriptorINS_5TupleIJNS_5EmbedINS5_IJNS_17integral_constantIiLi8EEENS7_IiLi256EEENS7_IiLi16EEEEEENS5_IJSA_NS7_IiLi128EEENS7_IiLi1EEEEEELb0EEENS_3XorINS5_IJS9_S8_EEELb1EEENS_11PassThroughISA_EENS_7UnMergeINS5_IJS8_SD_EEELb0EEENSJ_IS9_EESK_NSJ_IS8_EENS_21Merge_v3_division_modINS5_IJS9_SD_EEEEESK_EEENS5_IJNS_8SequenceIJLi0EEEENSU_IJLi2ELi1EEEENSU_IJLi3EEEENSU_IJLi5EEEENSU_IJLi4EEEENSU_IJLi6EEEENSU_IJLi7EEEENSU_IJLi9ELi8EEEENSU_IJLi10EEEEEEENS5_IJNSU_IJLi1ELi2ELi3EEEENSU_IJLi4ELi5EEEES10_NSU_IJLi7ELi8EEEENSU_IJLi9EEEES13_NSU_IJLi11EEEENSU_IJLi12EEEENSU_IJLi13EEEEEEENSU_IJLi11ELi12ELi13EEEENS7_IlLl32768EEEEENS4_INS5_IJNSL_INS5_IJS8_SD_SD_NS7_IiLi32EEEEEELb0EEEEEENS5_IJSV_EEENS5_IJNSU_IJLi1ELi2ELi3ELi4EEEEEEES1L_NS7_IlLl256EEEEENS4_INS5_IJSF_SI_SK_SN_SO_SK_SP_SS_SK_NSQ_INS5_IJS8_SA_EEEEENSL_INS5_IJS8_NS7_IiLi2EEESA_EEELb0EEEEEENS5_IJSV_SW_SX_SY_SZ_S10_S11_S12_S13_NSU_IJLi11ELi13EEEES1A_EEENS5_IJS15_S16_S10_S17_S18_S13_S19_S1A_S1B_NSU_IJLi14EEEENSU_IJLi15ELi16ELi17EEEEEEENSU_IJLi15ELi16ELi17ELi14EEEES1E_EENS4_INS5_IJS1I_NSQ_ISM_EES1T_EEENS5_IJSV_NSU_IJLi1ELi3EEEENSU_IJLi2EEEEEEENS5_IJS1L_SY_NSU_IJLi6ELi7ELi8EEEEEEENSU_IJLi6ELi7ELi8ELi5EEEES1N_EELi16ELi32ELi256ELi256ELi128ELi16ELi16ELi8ELi8ELi32ELb0EE3RunILb1ELNS_10TailNumberE1ENS4_INS5_IJNS6_INS5_IJiiEEENS5_IJiSD_EEELb0EEENSL_IS2E_Lb0EEENSJ_IiEEEEENS5_IJSV_S25_NSU_IJLi1EEEEEEENS5_IJNSU_IJLi1ELi2EEEENSU_IJLi3ELi4EEEESY_EEENSU_IJLi3ELi5ELi4EEEElEES1F_NS_35ThreadGroupTensorSliceTransfer_v4r1INS_15ThisThreadBlockILi256EEENS_16tensor_operation12element_wise11PassThroughES2W_LNS_25InMemoryDataOperationEnumE0ENSU_IJLi8ELi256ELi16EEEENSU_IJLi8ELi32ELi1EEEENSU_IJLi1ELi0ELi2EEEES2_S2_RKS2Q_KS1F_S30_NSU_IJLi0ELi1ELi2EEEELi2ELi2ELi16ELi16ELi1ELi1ELb0ELb1ELi2EiEENS_13DynamicBufferILNS_16AddressSpaceEnumE1EKS2_lLb1ELNS_22AmdBufferCoherenceEnumE0EiEENS5_IJNS36_ILS37_2ES2_S1E_Lb1ELS39_0EiEES3B_EEENS5_IJiiiEEENS4_INS5_IJNS6_INS5_IJiiiiEEENS5_IJiiiSD_EEELb0EEEEEES1K_S1M_S1L_lEENS_32ThreadwiseTensorSliceTransfer_v2IS3_S3_RKS3I_KS1O_NSU_IJLi8ELi1ELi1ELi32EEEENSU_IJLi1ELi2ELi0ELi3EEEELi3ELi32ELi0ELb1ELb0ELb0EEENS36_ILS37_1EKS3_lLb1ELS39_0EiEENS5_IJNS_12StaticBufferILS37_4ES3_Li256ELb1EEES3T_EEES3E_NS_25StaticBufferTupleOfVectorILS37_4EfLi64ELi4ELb1ELb0EEEEEvRKT1_RKT2_RT3_RKT4_RT5_RKT6_RKT7_RT8_RKT9_RT10_RKT11_RT12_i.numbered_sgpr)
	.set _ZN2ck45kernel_gemm_xdl_cshuffle_v3_b_preshuffle_2ldsINS_41GridwiseGemm_xdl_cshuffle_v3_b_preshuffleINS_13tensor_layout4gemm8RowMajorENS3_11ColumnMajorES4_NS_9f8_fnuz_tENS_7pk_i4_tEfDF16_DF16_NS_16tensor_operation12element_wise11PassThroughESA_SA_LNS8_6device18GemmSpecializationE0ELi256ELi256ELi256ELi128ELi16ELi32ELi16ELi16ELi8ELi8ENS_8SequenceIJLi8ELi32ELi1EEEENSD_IJLi1ELi0ELi2EEEESF_Li2ELi16ELi16ELb0ELi0ENSD_IJLi4ELi64ELi1EEEESF_SF_Li2ELi32ELi32ELb0ELi0ELi1ELi1ENSD_IJLi1ELi32ELi1ELi8EEEELi4ELNS_26BlockGemmPipelineSchedulerE0ELNS_24BlockGemmPipelineVersionE2ES6_S6_Lb0ELb0ELi0EEELb1ELNS_25InMemoryDataOperationEnumE1ELi1ELNS_10TailNumberE1EEEvNT_8ArgumentE.num_named_barrier, max(0, .L_ZNK2ck52BlockwiseGemmXdlops_pipeline_bpreshuffle_bdequant_v3ILNS_26BlockGemmPipelineSchedulerE0ELi256ENS_9f8_fnuz_tENS_7pk_i4_tES2_fNS_16TensorDescriptorINS_5TupleIJNS_5EmbedINS5_IJNS_17integral_constantIiLi8EEENS7_IiLi256EEENS7_IiLi16EEEEEENS5_IJSA_NS7_IiLi128EEENS7_IiLi1EEEEEELb0EEENS_3XorINS5_IJS9_S8_EEELb1EEENS_11PassThroughISA_EENS_7UnMergeINS5_IJS8_SD_EEELb0EEENSJ_IS9_EESK_NSJ_IS8_EENS_21Merge_v3_division_modINS5_IJS9_SD_EEEEESK_EEENS5_IJNS_8SequenceIJLi0EEEENSU_IJLi2ELi1EEEENSU_IJLi3EEEENSU_IJLi5EEEENSU_IJLi4EEEENSU_IJLi6EEEENSU_IJLi7EEEENSU_IJLi9ELi8EEEENSU_IJLi10EEEEEEENS5_IJNSU_IJLi1ELi2ELi3EEEENSU_IJLi4ELi5EEEES10_NSU_IJLi7ELi8EEEENSU_IJLi9EEEES13_NSU_IJLi11EEEENSU_IJLi12EEEENSU_IJLi13EEEEEEENSU_IJLi11ELi12ELi13EEEENS7_IlLl32768EEEEENS4_INS5_IJNSL_INS5_IJS8_SD_SD_NS7_IiLi32EEEEEELb0EEEEEENS5_IJSV_EEENS5_IJNSU_IJLi1ELi2ELi3ELi4EEEEEEES1L_NS7_IlLl256EEEEENS4_INS5_IJSF_SI_SK_SN_SO_SK_SP_SS_SK_NSQ_INS5_IJS8_SA_EEEEENSL_INS5_IJS8_NS7_IiLi2EEESA_EEELb0EEEEEENS5_IJSV_SW_SX_SY_SZ_S10_S11_S12_S13_NSU_IJLi11ELi13EEEES1A_EEENS5_IJS15_S16_S10_S17_S18_S13_S19_S1A_S1B_NSU_IJLi14EEEENSU_IJLi15ELi16ELi17EEEEEEENSU_IJLi15ELi16ELi17ELi14EEEES1E_EENS4_INS5_IJS1I_NSQ_ISM_EES1T_EEENS5_IJSV_NSU_IJLi1ELi3EEEENSU_IJLi2EEEEEEENS5_IJS1L_SY_NSU_IJLi6ELi7ELi8EEEEEEENSU_IJLi6ELi7ELi8ELi5EEEES1N_EELi16ELi32ELi256ELi256ELi128ELi16ELi16ELi8ELi8ELi32ELb0EE3RunILb1ELNS_10TailNumberE1ENS4_INS5_IJNS6_INS5_IJiiEEENS5_IJiSD_EEELb0EEENSL_IS2E_Lb0EEENSJ_IiEEEEENS5_IJSV_S25_NSU_IJLi1EEEEEEENS5_IJNSU_IJLi1ELi2EEEENSU_IJLi3ELi4EEEESY_EEENSU_IJLi3ELi5ELi4EEEElEES1F_NS_35ThreadGroupTensorSliceTransfer_v4r1INS_15ThisThreadBlockILi256EEENS_16tensor_operation12element_wise11PassThroughES2W_LNS_25InMemoryDataOperationEnumE0ENSU_IJLi8ELi256ELi16EEEENSU_IJLi8ELi32ELi1EEEENSU_IJLi1ELi0ELi2EEEES2_S2_RKS2Q_KS1F_S30_NSU_IJLi0ELi1ELi2EEEELi2ELi2ELi16ELi16ELi1ELi1ELb0ELb1ELi2EiEENS_13DynamicBufferILNS_16AddressSpaceEnumE1EKS2_lLb1ELNS_22AmdBufferCoherenceEnumE0EiEENS5_IJNS36_ILS37_2ES2_S1E_Lb1ELS39_0EiEES3B_EEENS5_IJiiiEEENS4_INS5_IJNS6_INS5_IJiiiiEEENS5_IJiiiSD_EEELb0EEEEEES1K_S1M_S1L_lEENS_32ThreadwiseTensorSliceTransfer_v2IS3_S3_RKS3I_KS1O_NSU_IJLi8ELi1ELi1ELi32EEEENSU_IJLi1ELi2ELi0ELi3EEEELi3ELi32ELi0ELb1ELb0ELb0EEENS36_ILS37_1EKS3_lLb1ELS39_0EiEENS5_IJNS_12StaticBufferILS37_4ES3_Li256ELb1EEES3T_EEES3E_NS_25StaticBufferTupleOfVectorILS37_4EfLi64ELi4ELb1ELb0EEEEEvRKT1_RKT2_RT3_RKT4_RT5_RKT6_RKT7_RT8_RKT9_RT10_RKT11_RT12_i.num_named_barrier)
	.set _ZN2ck45kernel_gemm_xdl_cshuffle_v3_b_preshuffle_2ldsINS_41GridwiseGemm_xdl_cshuffle_v3_b_preshuffleINS_13tensor_layout4gemm8RowMajorENS3_11ColumnMajorES4_NS_9f8_fnuz_tENS_7pk_i4_tEfDF16_DF16_NS_16tensor_operation12element_wise11PassThroughESA_SA_LNS8_6device18GemmSpecializationE0ELi256ELi256ELi256ELi128ELi16ELi32ELi16ELi16ELi8ELi8ENS_8SequenceIJLi8ELi32ELi1EEEENSD_IJLi1ELi0ELi2EEEESF_Li2ELi16ELi16ELb0ELi0ENSD_IJLi4ELi64ELi1EEEESF_SF_Li2ELi32ELi32ELb0ELi0ELi1ELi1ENSD_IJLi1ELi32ELi1ELi8EEEELi4ELNS_26BlockGemmPipelineSchedulerE0ELNS_24BlockGemmPipelineVersionE2ES6_S6_Lb0ELb0ELi0EEELb1ELNS_25InMemoryDataOperationEnumE1ELi1ELNS_10TailNumberE1EEEvNT_8ArgumentE.private_seg_size, 3312+max(.L_ZNK2ck52BlockwiseGemmXdlops_pipeline_bpreshuffle_bdequant_v3ILNS_26BlockGemmPipelineSchedulerE0ELi256ENS_9f8_fnuz_tENS_7pk_i4_tES2_fNS_16TensorDescriptorINS_5TupleIJNS_5EmbedINS5_IJNS_17integral_constantIiLi8EEENS7_IiLi256EEENS7_IiLi16EEEEEENS5_IJSA_NS7_IiLi128EEENS7_IiLi1EEEEEELb0EEENS_3XorINS5_IJS9_S8_EEELb1EEENS_11PassThroughISA_EENS_7UnMergeINS5_IJS8_SD_EEELb0EEENSJ_IS9_EESK_NSJ_IS8_EENS_21Merge_v3_division_modINS5_IJS9_SD_EEEEESK_EEENS5_IJNS_8SequenceIJLi0EEEENSU_IJLi2ELi1EEEENSU_IJLi3EEEENSU_IJLi5EEEENSU_IJLi4EEEENSU_IJLi6EEEENSU_IJLi7EEEENSU_IJLi9ELi8EEEENSU_IJLi10EEEEEEENS5_IJNSU_IJLi1ELi2ELi3EEEENSU_IJLi4ELi5EEEES10_NSU_IJLi7ELi8EEEENSU_IJLi9EEEES13_NSU_IJLi11EEEENSU_IJLi12EEEENSU_IJLi13EEEEEEENSU_IJLi11ELi12ELi13EEEENS7_IlLl32768EEEEENS4_INS5_IJNSL_INS5_IJS8_SD_SD_NS7_IiLi32EEEEEELb0EEEEEENS5_IJSV_EEENS5_IJNSU_IJLi1ELi2ELi3ELi4EEEEEEES1L_NS7_IlLl256EEEEENS4_INS5_IJSF_SI_SK_SN_SO_SK_SP_SS_SK_NSQ_INS5_IJS8_SA_EEEEENSL_INS5_IJS8_NS7_IiLi2EEESA_EEELb0EEEEEENS5_IJSV_SW_SX_SY_SZ_S10_S11_S12_S13_NSU_IJLi11ELi13EEEES1A_EEENS5_IJS15_S16_S10_S17_S18_S13_S19_S1A_S1B_NSU_IJLi14EEEENSU_IJLi15ELi16ELi17EEEEEEENSU_IJLi15ELi16ELi17ELi14EEEES1E_EENS4_INS5_IJS1I_NSQ_ISM_EES1T_EEENS5_IJSV_NSU_IJLi1ELi3EEEENSU_IJLi2EEEEEEENS5_IJS1L_SY_NSU_IJLi6ELi7ELi8EEEEEEENSU_IJLi6ELi7ELi8ELi5EEEES1N_EELi16ELi32ELi256ELi256ELi128ELi16ELi16ELi8ELi8ELi32ELb0EE3RunILb1ELNS_10TailNumberE1ENS4_INS5_IJNS6_INS5_IJiiEEENS5_IJiSD_EEELb0EEENSL_IS2E_Lb0EEENSJ_IiEEEEENS5_IJSV_S25_NSU_IJLi1EEEEEEENS5_IJNSU_IJLi1ELi2EEEENSU_IJLi3ELi4EEEESY_EEENSU_IJLi3ELi5ELi4EEEElEES1F_NS_35ThreadGroupTensorSliceTransfer_v4r1INS_15ThisThreadBlockILi256EEENS_16tensor_operation12element_wise11PassThroughES2W_LNS_25InMemoryDataOperationEnumE0ENSU_IJLi8ELi256ELi16EEEENSU_IJLi8ELi32ELi1EEEENSU_IJLi1ELi0ELi2EEEES2_S2_RKS2Q_KS1F_S30_NSU_IJLi0ELi1ELi2EEEELi2ELi2ELi16ELi16ELi1ELi1ELb0ELb1ELi2EiEENS_13DynamicBufferILNS_16AddressSpaceEnumE1EKS2_lLb1ELNS_22AmdBufferCoherenceEnumE0EiEENS5_IJNS36_ILS37_2ES2_S1E_Lb1ELS39_0EiEES3B_EEENS5_IJiiiEEENS4_INS5_IJNS6_INS5_IJiiiiEEENS5_IJiiiSD_EEELb0EEEEEES1K_S1M_S1L_lEENS_32ThreadwiseTensorSliceTransfer_v2IS3_S3_RKS3I_KS1O_NSU_IJLi8ELi1ELi1ELi32EEEENSU_IJLi1ELi2ELi0ELi3EEEELi3ELi32ELi0ELb1ELb0ELb0EEENS36_ILS37_1EKS3_lLb1ELS39_0EiEENS5_IJNS_12StaticBufferILS37_4ES3_Li256ELb1EEES3T_EEES3E_NS_25StaticBufferTupleOfVectorILS37_4EfLi64ELi4ELb1ELb0EEEEEvRKT1_RKT2_RT3_RKT4_RT5_RKT6_RKT7_RT8_RKT9_RT10_RKT11_RT12_i.private_seg_size)
	.set _ZN2ck45kernel_gemm_xdl_cshuffle_v3_b_preshuffle_2ldsINS_41GridwiseGemm_xdl_cshuffle_v3_b_preshuffleINS_13tensor_layout4gemm8RowMajorENS3_11ColumnMajorES4_NS_9f8_fnuz_tENS_7pk_i4_tEfDF16_DF16_NS_16tensor_operation12element_wise11PassThroughESA_SA_LNS8_6device18GemmSpecializationE0ELi256ELi256ELi256ELi128ELi16ELi32ELi16ELi16ELi8ELi8ENS_8SequenceIJLi8ELi32ELi1EEEENSD_IJLi1ELi0ELi2EEEESF_Li2ELi16ELi16ELb0ELi0ENSD_IJLi4ELi64ELi1EEEESF_SF_Li2ELi32ELi32ELb0ELi0ELi1ELi1ENSD_IJLi1ELi32ELi1ELi8EEEELi4ELNS_26BlockGemmPipelineSchedulerE0ELNS_24BlockGemmPipelineVersionE2ES6_S6_Lb0ELb0ELi0EEELb1ELNS_25InMemoryDataOperationEnumE1ELi1ELNS_10TailNumberE1EEEvNT_8ArgumentE.uses_vcc, or(1, .L_ZNK2ck52BlockwiseGemmXdlops_pipeline_bpreshuffle_bdequant_v3ILNS_26BlockGemmPipelineSchedulerE0ELi256ENS_9f8_fnuz_tENS_7pk_i4_tES2_fNS_16TensorDescriptorINS_5TupleIJNS_5EmbedINS5_IJNS_17integral_constantIiLi8EEENS7_IiLi256EEENS7_IiLi16EEEEEENS5_IJSA_NS7_IiLi128EEENS7_IiLi1EEEEEELb0EEENS_3XorINS5_IJS9_S8_EEELb1EEENS_11PassThroughISA_EENS_7UnMergeINS5_IJS8_SD_EEELb0EEENSJ_IS9_EESK_NSJ_IS8_EENS_21Merge_v3_division_modINS5_IJS9_SD_EEEEESK_EEENS5_IJNS_8SequenceIJLi0EEEENSU_IJLi2ELi1EEEENSU_IJLi3EEEENSU_IJLi5EEEENSU_IJLi4EEEENSU_IJLi6EEEENSU_IJLi7EEEENSU_IJLi9ELi8EEEENSU_IJLi10EEEEEEENS5_IJNSU_IJLi1ELi2ELi3EEEENSU_IJLi4ELi5EEEES10_NSU_IJLi7ELi8EEEENSU_IJLi9EEEES13_NSU_IJLi11EEEENSU_IJLi12EEEENSU_IJLi13EEEEEEENSU_IJLi11ELi12ELi13EEEENS7_IlLl32768EEEEENS4_INS5_IJNSL_INS5_IJS8_SD_SD_NS7_IiLi32EEEEEELb0EEEEEENS5_IJSV_EEENS5_IJNSU_IJLi1ELi2ELi3ELi4EEEEEEES1L_NS7_IlLl256EEEEENS4_INS5_IJSF_SI_SK_SN_SO_SK_SP_SS_SK_NSQ_INS5_IJS8_SA_EEEEENSL_INS5_IJS8_NS7_IiLi2EEESA_EEELb0EEEEEENS5_IJSV_SW_SX_SY_SZ_S10_S11_S12_S13_NSU_IJLi11ELi13EEEES1A_EEENS5_IJS15_S16_S10_S17_S18_S13_S19_S1A_S1B_NSU_IJLi14EEEENSU_IJLi15ELi16ELi17EEEEEEENSU_IJLi15ELi16ELi17ELi14EEEES1E_EENS4_INS5_IJS1I_NSQ_ISM_EES1T_EEENS5_IJSV_NSU_IJLi1ELi3EEEENSU_IJLi2EEEEEEENS5_IJS1L_SY_NSU_IJLi6ELi7ELi8EEEEEEENSU_IJLi6ELi7ELi8ELi5EEEES1N_EELi16ELi32ELi256ELi256ELi128ELi16ELi16ELi8ELi8ELi32ELb0EE3RunILb1ELNS_10TailNumberE1ENS4_INS5_IJNS6_INS5_IJiiEEENS5_IJiSD_EEELb0EEENSL_IS2E_Lb0EEENSJ_IiEEEEENS5_IJSV_S25_NSU_IJLi1EEEEEEENS5_IJNSU_IJLi1ELi2EEEENSU_IJLi3ELi4EEEESY_EEENSU_IJLi3ELi5ELi4EEEElEES1F_NS_35ThreadGroupTensorSliceTransfer_v4r1INS_15ThisThreadBlockILi256EEENS_16tensor_operation12element_wise11PassThroughES2W_LNS_25InMemoryDataOperationEnumE0ENSU_IJLi8ELi256ELi16EEEENSU_IJLi8ELi32ELi1EEEENSU_IJLi1ELi0ELi2EEEES2_S2_RKS2Q_KS1F_S30_NSU_IJLi0ELi1ELi2EEEELi2ELi2ELi16ELi16ELi1ELi1ELb0ELb1ELi2EiEENS_13DynamicBufferILNS_16AddressSpaceEnumE1EKS2_lLb1ELNS_22AmdBufferCoherenceEnumE0EiEENS5_IJNS36_ILS37_2ES2_S1E_Lb1ELS39_0EiEES3B_EEENS5_IJiiiEEENS4_INS5_IJNS6_INS5_IJiiiiEEENS5_IJiiiSD_EEELb0EEEEEES1K_S1M_S1L_lEENS_32ThreadwiseTensorSliceTransfer_v2IS3_S3_RKS3I_KS1O_NSU_IJLi8ELi1ELi1ELi32EEEENSU_IJLi1ELi2ELi0ELi3EEEELi3ELi32ELi0ELb1ELb0ELb0EEENS36_ILS37_1EKS3_lLb1ELS39_0EiEENS5_IJNS_12StaticBufferILS37_4ES3_Li256ELb1EEES3T_EEES3E_NS_25StaticBufferTupleOfVectorILS37_4EfLi64ELi4ELb1ELb0EEEEEvRKT1_RKT2_RT3_RKT4_RT5_RKT6_RKT7_RT8_RKT9_RT10_RKT11_RT12_i.uses_vcc)
	.set _ZN2ck45kernel_gemm_xdl_cshuffle_v3_b_preshuffle_2ldsINS_41GridwiseGemm_xdl_cshuffle_v3_b_preshuffleINS_13tensor_layout4gemm8RowMajorENS3_11ColumnMajorES4_NS_9f8_fnuz_tENS_7pk_i4_tEfDF16_DF16_NS_16tensor_operation12element_wise11PassThroughESA_SA_LNS8_6device18GemmSpecializationE0ELi256ELi256ELi256ELi128ELi16ELi32ELi16ELi16ELi8ELi8ENS_8SequenceIJLi8ELi32ELi1EEEENSD_IJLi1ELi0ELi2EEEESF_Li2ELi16ELi16ELb0ELi0ENSD_IJLi4ELi64ELi1EEEESF_SF_Li2ELi32ELi32ELb0ELi0ELi1ELi1ENSD_IJLi1ELi32ELi1ELi8EEEELi4ELNS_26BlockGemmPipelineSchedulerE0ELNS_24BlockGemmPipelineVersionE2ES6_S6_Lb0ELb0ELi0EEELb1ELNS_25InMemoryDataOperationEnumE1ELi1ELNS_10TailNumberE1EEEvNT_8ArgumentE.uses_flat_scratch, or(0, .L_ZNK2ck52BlockwiseGemmXdlops_pipeline_bpreshuffle_bdequant_v3ILNS_26BlockGemmPipelineSchedulerE0ELi256ENS_9f8_fnuz_tENS_7pk_i4_tES2_fNS_16TensorDescriptorINS_5TupleIJNS_5EmbedINS5_IJNS_17integral_constantIiLi8EEENS7_IiLi256EEENS7_IiLi16EEEEEENS5_IJSA_NS7_IiLi128EEENS7_IiLi1EEEEEELb0EEENS_3XorINS5_IJS9_S8_EEELb1EEENS_11PassThroughISA_EENS_7UnMergeINS5_IJS8_SD_EEELb0EEENSJ_IS9_EESK_NSJ_IS8_EENS_21Merge_v3_division_modINS5_IJS9_SD_EEEEESK_EEENS5_IJNS_8SequenceIJLi0EEEENSU_IJLi2ELi1EEEENSU_IJLi3EEEENSU_IJLi5EEEENSU_IJLi4EEEENSU_IJLi6EEEENSU_IJLi7EEEENSU_IJLi9ELi8EEEENSU_IJLi10EEEEEEENS5_IJNSU_IJLi1ELi2ELi3EEEENSU_IJLi4ELi5EEEES10_NSU_IJLi7ELi8EEEENSU_IJLi9EEEES13_NSU_IJLi11EEEENSU_IJLi12EEEENSU_IJLi13EEEEEEENSU_IJLi11ELi12ELi13EEEENS7_IlLl32768EEEEENS4_INS5_IJNSL_INS5_IJS8_SD_SD_NS7_IiLi32EEEEEELb0EEEEEENS5_IJSV_EEENS5_IJNSU_IJLi1ELi2ELi3ELi4EEEEEEES1L_NS7_IlLl256EEEEENS4_INS5_IJSF_SI_SK_SN_SO_SK_SP_SS_SK_NSQ_INS5_IJS8_SA_EEEEENSL_INS5_IJS8_NS7_IiLi2EEESA_EEELb0EEEEEENS5_IJSV_SW_SX_SY_SZ_S10_S11_S12_S13_NSU_IJLi11ELi13EEEES1A_EEENS5_IJS15_S16_S10_S17_S18_S13_S19_S1A_S1B_NSU_IJLi14EEEENSU_IJLi15ELi16ELi17EEEEEEENSU_IJLi15ELi16ELi17ELi14EEEES1E_EENS4_INS5_IJS1I_NSQ_ISM_EES1T_EEENS5_IJSV_NSU_IJLi1ELi3EEEENSU_IJLi2EEEEEEENS5_IJS1L_SY_NSU_IJLi6ELi7ELi8EEEEEEENSU_IJLi6ELi7ELi8ELi5EEEES1N_EELi16ELi32ELi256ELi256ELi128ELi16ELi16ELi8ELi8ELi32ELb0EE3RunILb1ELNS_10TailNumberE1ENS4_INS5_IJNS6_INS5_IJiiEEENS5_IJiSD_EEELb0EEENSL_IS2E_Lb0EEENSJ_IiEEEEENS5_IJSV_S25_NSU_IJLi1EEEEEEENS5_IJNSU_IJLi1ELi2EEEENSU_IJLi3ELi4EEEESY_EEENSU_IJLi3ELi5ELi4EEEElEES1F_NS_35ThreadGroupTensorSliceTransfer_v4r1INS_15ThisThreadBlockILi256EEENS_16tensor_operation12element_wise11PassThroughES2W_LNS_25InMemoryDataOperationEnumE0ENSU_IJLi8ELi256ELi16EEEENSU_IJLi8ELi32ELi1EEEENSU_IJLi1ELi0ELi2EEEES2_S2_RKS2Q_KS1F_S30_NSU_IJLi0ELi1ELi2EEEELi2ELi2ELi16ELi16ELi1ELi1ELb0ELb1ELi2EiEENS_13DynamicBufferILNS_16AddressSpaceEnumE1EKS2_lLb1ELNS_22AmdBufferCoherenceEnumE0EiEENS5_IJNS36_ILS37_2ES2_S1E_Lb1ELS39_0EiEES3B_EEENS5_IJiiiEEENS4_INS5_IJNS6_INS5_IJiiiiEEENS5_IJiiiSD_EEELb0EEEEEES1K_S1M_S1L_lEENS_32ThreadwiseTensorSliceTransfer_v2IS3_S3_RKS3I_KS1O_NSU_IJLi8ELi1ELi1ELi32EEEENSU_IJLi1ELi2ELi0ELi3EEEELi3ELi32ELi0ELb1ELb0ELb0EEENS36_ILS37_1EKS3_lLb1ELS39_0EiEENS5_IJNS_12StaticBufferILS37_4ES3_Li256ELb1EEES3T_EEES3E_NS_25StaticBufferTupleOfVectorILS37_4EfLi64ELi4ELb1ELb0EEEEEvRKT1_RKT2_RT3_RKT4_RT5_RKT6_RKT7_RT8_RKT9_RT10_RKT11_RT12_i.uses_flat_scratch)
	.set _ZN2ck45kernel_gemm_xdl_cshuffle_v3_b_preshuffle_2ldsINS_41GridwiseGemm_xdl_cshuffle_v3_b_preshuffleINS_13tensor_layout4gemm8RowMajorENS3_11ColumnMajorES4_NS_9f8_fnuz_tENS_7pk_i4_tEfDF16_DF16_NS_16tensor_operation12element_wise11PassThroughESA_SA_LNS8_6device18GemmSpecializationE0ELi256ELi256ELi256ELi128ELi16ELi32ELi16ELi16ELi8ELi8ENS_8SequenceIJLi8ELi32ELi1EEEENSD_IJLi1ELi0ELi2EEEESF_Li2ELi16ELi16ELb0ELi0ENSD_IJLi4ELi64ELi1EEEESF_SF_Li2ELi32ELi32ELb0ELi0ELi1ELi1ENSD_IJLi1ELi32ELi1ELi8EEEELi4ELNS_26BlockGemmPipelineSchedulerE0ELNS_24BlockGemmPipelineVersionE2ES6_S6_Lb0ELb0ELi0EEELb1ELNS_25InMemoryDataOperationEnumE1ELi1ELNS_10TailNumberE1EEEvNT_8ArgumentE.has_dyn_sized_stack, or(0, .L_ZNK2ck52BlockwiseGemmXdlops_pipeline_bpreshuffle_bdequant_v3ILNS_26BlockGemmPipelineSchedulerE0ELi256ENS_9f8_fnuz_tENS_7pk_i4_tES2_fNS_16TensorDescriptorINS_5TupleIJNS_5EmbedINS5_IJNS_17integral_constantIiLi8EEENS7_IiLi256EEENS7_IiLi16EEEEEENS5_IJSA_NS7_IiLi128EEENS7_IiLi1EEEEEELb0EEENS_3XorINS5_IJS9_S8_EEELb1EEENS_11PassThroughISA_EENS_7UnMergeINS5_IJS8_SD_EEELb0EEENSJ_IS9_EESK_NSJ_IS8_EENS_21Merge_v3_division_modINS5_IJS9_SD_EEEEESK_EEENS5_IJNS_8SequenceIJLi0EEEENSU_IJLi2ELi1EEEENSU_IJLi3EEEENSU_IJLi5EEEENSU_IJLi4EEEENSU_IJLi6EEEENSU_IJLi7EEEENSU_IJLi9ELi8EEEENSU_IJLi10EEEEEEENS5_IJNSU_IJLi1ELi2ELi3EEEENSU_IJLi4ELi5EEEES10_NSU_IJLi7ELi8EEEENSU_IJLi9EEEES13_NSU_IJLi11EEEENSU_IJLi12EEEENSU_IJLi13EEEEEEENSU_IJLi11ELi12ELi13EEEENS7_IlLl32768EEEEENS4_INS5_IJNSL_INS5_IJS8_SD_SD_NS7_IiLi32EEEEEELb0EEEEEENS5_IJSV_EEENS5_IJNSU_IJLi1ELi2ELi3ELi4EEEEEEES1L_NS7_IlLl256EEEEENS4_INS5_IJSF_SI_SK_SN_SO_SK_SP_SS_SK_NSQ_INS5_IJS8_SA_EEEEENSL_INS5_IJS8_NS7_IiLi2EEESA_EEELb0EEEEEENS5_IJSV_SW_SX_SY_SZ_S10_S11_S12_S13_NSU_IJLi11ELi13EEEES1A_EEENS5_IJS15_S16_S10_S17_S18_S13_S19_S1A_S1B_NSU_IJLi14EEEENSU_IJLi15ELi16ELi17EEEEEEENSU_IJLi15ELi16ELi17ELi14EEEES1E_EENS4_INS5_IJS1I_NSQ_ISM_EES1T_EEENS5_IJSV_NSU_IJLi1ELi3EEEENSU_IJLi2EEEEEEENS5_IJS1L_SY_NSU_IJLi6ELi7ELi8EEEEEEENSU_IJLi6ELi7ELi8ELi5EEEES1N_EELi16ELi32ELi256ELi256ELi128ELi16ELi16ELi8ELi8ELi32ELb0EE3RunILb1ELNS_10TailNumberE1ENS4_INS5_IJNS6_INS5_IJiiEEENS5_IJiSD_EEELb0EEENSL_IS2E_Lb0EEENSJ_IiEEEEENS5_IJSV_S25_NSU_IJLi1EEEEEEENS5_IJNSU_IJLi1ELi2EEEENSU_IJLi3ELi4EEEESY_EEENSU_IJLi3ELi5ELi4EEEElEES1F_NS_35ThreadGroupTensorSliceTransfer_v4r1INS_15ThisThreadBlockILi256EEENS_16tensor_operation12element_wise11PassThroughES2W_LNS_25InMemoryDataOperationEnumE0ENSU_IJLi8ELi256ELi16EEEENSU_IJLi8ELi32ELi1EEEENSU_IJLi1ELi0ELi2EEEES2_S2_RKS2Q_KS1F_S30_NSU_IJLi0ELi1ELi2EEEELi2ELi2ELi16ELi16ELi1ELi1ELb0ELb1ELi2EiEENS_13DynamicBufferILNS_16AddressSpaceEnumE1EKS2_lLb1ELNS_22AmdBufferCoherenceEnumE0EiEENS5_IJNS36_ILS37_2ES2_S1E_Lb1ELS39_0EiEES3B_EEENS5_IJiiiEEENS4_INS5_IJNS6_INS5_IJiiiiEEENS5_IJiiiSD_EEELb0EEEEEES1K_S1M_S1L_lEENS_32ThreadwiseTensorSliceTransfer_v2IS3_S3_RKS3I_KS1O_NSU_IJLi8ELi1ELi1ELi32EEEENSU_IJLi1ELi2ELi0ELi3EEEELi3ELi32ELi0ELb1ELb0ELb0EEENS36_ILS37_1EKS3_lLb1ELS39_0EiEENS5_IJNS_12StaticBufferILS37_4ES3_Li256ELb1EEES3T_EEES3E_NS_25StaticBufferTupleOfVectorILS37_4EfLi64ELi4ELb1ELb0EEEEEvRKT1_RKT2_RT3_RKT4_RT5_RKT6_RKT7_RT8_RKT9_RT10_RKT11_RT12_i.has_dyn_sized_stack)
	.set _ZN2ck45kernel_gemm_xdl_cshuffle_v3_b_preshuffle_2ldsINS_41GridwiseGemm_xdl_cshuffle_v3_b_preshuffleINS_13tensor_layout4gemm8RowMajorENS3_11ColumnMajorES4_NS_9f8_fnuz_tENS_7pk_i4_tEfDF16_DF16_NS_16tensor_operation12element_wise11PassThroughESA_SA_LNS8_6device18GemmSpecializationE0ELi256ELi256ELi256ELi128ELi16ELi32ELi16ELi16ELi8ELi8ENS_8SequenceIJLi8ELi32ELi1EEEENSD_IJLi1ELi0ELi2EEEESF_Li2ELi16ELi16ELb0ELi0ENSD_IJLi4ELi64ELi1EEEESF_SF_Li2ELi32ELi32ELb0ELi0ELi1ELi1ENSD_IJLi1ELi32ELi1ELi8EEEELi4ELNS_26BlockGemmPipelineSchedulerE0ELNS_24BlockGemmPipelineVersionE2ES6_S6_Lb0ELb0ELi0EEELb1ELNS_25InMemoryDataOperationEnumE1ELi1ELNS_10TailNumberE1EEEvNT_8ArgumentE.has_recursion, or(0, .L_ZNK2ck52BlockwiseGemmXdlops_pipeline_bpreshuffle_bdequant_v3ILNS_26BlockGemmPipelineSchedulerE0ELi256ENS_9f8_fnuz_tENS_7pk_i4_tES2_fNS_16TensorDescriptorINS_5TupleIJNS_5EmbedINS5_IJNS_17integral_constantIiLi8EEENS7_IiLi256EEENS7_IiLi16EEEEEENS5_IJSA_NS7_IiLi128EEENS7_IiLi1EEEEEELb0EEENS_3XorINS5_IJS9_S8_EEELb1EEENS_11PassThroughISA_EENS_7UnMergeINS5_IJS8_SD_EEELb0EEENSJ_IS9_EESK_NSJ_IS8_EENS_21Merge_v3_division_modINS5_IJS9_SD_EEEEESK_EEENS5_IJNS_8SequenceIJLi0EEEENSU_IJLi2ELi1EEEENSU_IJLi3EEEENSU_IJLi5EEEENSU_IJLi4EEEENSU_IJLi6EEEENSU_IJLi7EEEENSU_IJLi9ELi8EEEENSU_IJLi10EEEEEEENS5_IJNSU_IJLi1ELi2ELi3EEEENSU_IJLi4ELi5EEEES10_NSU_IJLi7ELi8EEEENSU_IJLi9EEEES13_NSU_IJLi11EEEENSU_IJLi12EEEENSU_IJLi13EEEEEEENSU_IJLi11ELi12ELi13EEEENS7_IlLl32768EEEEENS4_INS5_IJNSL_INS5_IJS8_SD_SD_NS7_IiLi32EEEEEELb0EEEEEENS5_IJSV_EEENS5_IJNSU_IJLi1ELi2ELi3ELi4EEEEEEES1L_NS7_IlLl256EEEEENS4_INS5_IJSF_SI_SK_SN_SO_SK_SP_SS_SK_NSQ_INS5_IJS8_SA_EEEEENSL_INS5_IJS8_NS7_IiLi2EEESA_EEELb0EEEEEENS5_IJSV_SW_SX_SY_SZ_S10_S11_S12_S13_NSU_IJLi11ELi13EEEES1A_EEENS5_IJS15_S16_S10_S17_S18_S13_S19_S1A_S1B_NSU_IJLi14EEEENSU_IJLi15ELi16ELi17EEEEEEENSU_IJLi15ELi16ELi17ELi14EEEES1E_EENS4_INS5_IJS1I_NSQ_ISM_EES1T_EEENS5_IJSV_NSU_IJLi1ELi3EEEENSU_IJLi2EEEEEEENS5_IJS1L_SY_NSU_IJLi6ELi7ELi8EEEEEEENSU_IJLi6ELi7ELi8ELi5EEEES1N_EELi16ELi32ELi256ELi256ELi128ELi16ELi16ELi8ELi8ELi32ELb0EE3RunILb1ELNS_10TailNumberE1ENS4_INS5_IJNS6_INS5_IJiiEEENS5_IJiSD_EEELb0EEENSL_IS2E_Lb0EEENSJ_IiEEEEENS5_IJSV_S25_NSU_IJLi1EEEEEEENS5_IJNSU_IJLi1ELi2EEEENSU_IJLi3ELi4EEEESY_EEENSU_IJLi3ELi5ELi4EEEElEES1F_NS_35ThreadGroupTensorSliceTransfer_v4r1INS_15ThisThreadBlockILi256EEENS_16tensor_operation12element_wise11PassThroughES2W_LNS_25InMemoryDataOperationEnumE0ENSU_IJLi8ELi256ELi16EEEENSU_IJLi8ELi32ELi1EEEENSU_IJLi1ELi0ELi2EEEES2_S2_RKS2Q_KS1F_S30_NSU_IJLi0ELi1ELi2EEEELi2ELi2ELi16ELi16ELi1ELi1ELb0ELb1ELi2EiEENS_13DynamicBufferILNS_16AddressSpaceEnumE1EKS2_lLb1ELNS_22AmdBufferCoherenceEnumE0EiEENS5_IJNS36_ILS37_2ES2_S1E_Lb1ELS39_0EiEES3B_EEENS5_IJiiiEEENS4_INS5_IJNS6_INS5_IJiiiiEEENS5_IJiiiSD_EEELb0EEEEEES1K_S1M_S1L_lEENS_32ThreadwiseTensorSliceTransfer_v2IS3_S3_RKS3I_KS1O_NSU_IJLi8ELi1ELi1ELi32EEEENSU_IJLi1ELi2ELi0ELi3EEEELi3ELi32ELi0ELb1ELb0ELb0EEENS36_ILS37_1EKS3_lLb1ELS39_0EiEENS5_IJNS_12StaticBufferILS37_4ES3_Li256ELb1EEES3T_EEES3E_NS_25StaticBufferTupleOfVectorILS37_4EfLi64ELi4ELb1ELb0EEEEEvRKT1_RKT2_RT3_RKT4_RT5_RKT6_RKT7_RT8_RKT9_RT10_RKT11_RT12_i.has_recursion)
	.set _ZN2ck45kernel_gemm_xdl_cshuffle_v3_b_preshuffle_2ldsINS_41GridwiseGemm_xdl_cshuffle_v3_b_preshuffleINS_13tensor_layout4gemm8RowMajorENS3_11ColumnMajorES4_NS_9f8_fnuz_tENS_7pk_i4_tEfDF16_DF16_NS_16tensor_operation12element_wise11PassThroughESA_SA_LNS8_6device18GemmSpecializationE0ELi256ELi256ELi256ELi128ELi16ELi32ELi16ELi16ELi8ELi8ENS_8SequenceIJLi8ELi32ELi1EEEENSD_IJLi1ELi0ELi2EEEESF_Li2ELi16ELi16ELb0ELi0ENSD_IJLi4ELi64ELi1EEEESF_SF_Li2ELi32ELi32ELb0ELi0ELi1ELi1ENSD_IJLi1ELi32ELi1ELi8EEEELi4ELNS_26BlockGemmPipelineSchedulerE0ELNS_24BlockGemmPipelineVersionE2ES6_S6_Lb0ELb0ELi0EEELb1ELNS_25InMemoryDataOperationEnumE1ELi1ELNS_10TailNumberE1EEEvNT_8ArgumentE.has_indirect_call, or(0, .L_ZNK2ck52BlockwiseGemmXdlops_pipeline_bpreshuffle_bdequant_v3ILNS_26BlockGemmPipelineSchedulerE0ELi256ENS_9f8_fnuz_tENS_7pk_i4_tES2_fNS_16TensorDescriptorINS_5TupleIJNS_5EmbedINS5_IJNS_17integral_constantIiLi8EEENS7_IiLi256EEENS7_IiLi16EEEEEENS5_IJSA_NS7_IiLi128EEENS7_IiLi1EEEEEELb0EEENS_3XorINS5_IJS9_S8_EEELb1EEENS_11PassThroughISA_EENS_7UnMergeINS5_IJS8_SD_EEELb0EEENSJ_IS9_EESK_NSJ_IS8_EENS_21Merge_v3_division_modINS5_IJS9_SD_EEEEESK_EEENS5_IJNS_8SequenceIJLi0EEEENSU_IJLi2ELi1EEEENSU_IJLi3EEEENSU_IJLi5EEEENSU_IJLi4EEEENSU_IJLi6EEEENSU_IJLi7EEEENSU_IJLi9ELi8EEEENSU_IJLi10EEEEEEENS5_IJNSU_IJLi1ELi2ELi3EEEENSU_IJLi4ELi5EEEES10_NSU_IJLi7ELi8EEEENSU_IJLi9EEEES13_NSU_IJLi11EEEENSU_IJLi12EEEENSU_IJLi13EEEEEEENSU_IJLi11ELi12ELi13EEEENS7_IlLl32768EEEEENS4_INS5_IJNSL_INS5_IJS8_SD_SD_NS7_IiLi32EEEEEELb0EEEEEENS5_IJSV_EEENS5_IJNSU_IJLi1ELi2ELi3ELi4EEEEEEES1L_NS7_IlLl256EEEEENS4_INS5_IJSF_SI_SK_SN_SO_SK_SP_SS_SK_NSQ_INS5_IJS8_SA_EEEEENSL_INS5_IJS8_NS7_IiLi2EEESA_EEELb0EEEEEENS5_IJSV_SW_SX_SY_SZ_S10_S11_S12_S13_NSU_IJLi11ELi13EEEES1A_EEENS5_IJS15_S16_S10_S17_S18_S13_S19_S1A_S1B_NSU_IJLi14EEEENSU_IJLi15ELi16ELi17EEEEEEENSU_IJLi15ELi16ELi17ELi14EEEES1E_EENS4_INS5_IJS1I_NSQ_ISM_EES1T_EEENS5_IJSV_NSU_IJLi1ELi3EEEENSU_IJLi2EEEEEEENS5_IJS1L_SY_NSU_IJLi6ELi7ELi8EEEEEEENSU_IJLi6ELi7ELi8ELi5EEEES1N_EELi16ELi32ELi256ELi256ELi128ELi16ELi16ELi8ELi8ELi32ELb0EE3RunILb1ELNS_10TailNumberE1ENS4_INS5_IJNS6_INS5_IJiiEEENS5_IJiSD_EEELb0EEENSL_IS2E_Lb0EEENSJ_IiEEEEENS5_IJSV_S25_NSU_IJLi1EEEEEEENS5_IJNSU_IJLi1ELi2EEEENSU_IJLi3ELi4EEEESY_EEENSU_IJLi3ELi5ELi4EEEElEES1F_NS_35ThreadGroupTensorSliceTransfer_v4r1INS_15ThisThreadBlockILi256EEENS_16tensor_operation12element_wise11PassThroughES2W_LNS_25InMemoryDataOperationEnumE0ENSU_IJLi8ELi256ELi16EEEENSU_IJLi8ELi32ELi1EEEENSU_IJLi1ELi0ELi2EEEES2_S2_RKS2Q_KS1F_S30_NSU_IJLi0ELi1ELi2EEEELi2ELi2ELi16ELi16ELi1ELi1ELb0ELb1ELi2EiEENS_13DynamicBufferILNS_16AddressSpaceEnumE1EKS2_lLb1ELNS_22AmdBufferCoherenceEnumE0EiEENS5_IJNS36_ILS37_2ES2_S1E_Lb1ELS39_0EiEES3B_EEENS5_IJiiiEEENS4_INS5_IJNS6_INS5_IJiiiiEEENS5_IJiiiSD_EEELb0EEEEEES1K_S1M_S1L_lEENS_32ThreadwiseTensorSliceTransfer_v2IS3_S3_RKS3I_KS1O_NSU_IJLi8ELi1ELi1ELi32EEEENSU_IJLi1ELi2ELi0ELi3EEEELi3ELi32ELi0ELb1ELb0ELb0EEENS36_ILS37_1EKS3_lLb1ELS39_0EiEENS5_IJNS_12StaticBufferILS37_4ES3_Li256ELb1EEES3T_EEES3E_NS_25StaticBufferTupleOfVectorILS37_4EfLi64ELi4ELb1ELb0EEEEEvRKT1_RKT2_RT3_RKT4_RT5_RKT6_RKT7_RT8_RKT9_RT10_RKT11_RT12_i.has_indirect_call)
	.section	.AMDGPU.csdata,"",@progbits
; Kernel info:
; codeLenInByte = 11216
; TotalNumSgprs: 46
; NumVgprs: 256
; NumAgprs: 56
; TotalNumVgprs: 312
; ScratchSize: 3312
; MemoryBound: 0
; FloatMode: 240
; IeeeMode: 1
; LDSByteSize: 65536 bytes/workgroup (compile time only)
; SGPRBlocks: 12
; VGPRBlocks: 38
; NumSGPRsForWavesPerEU: 102
; NumVGPRsForWavesPerEU: 312
; AccumOffset: 256
; Occupancy: 1
; WaveLimiterHint : 1
; COMPUTE_PGM_RSRC2:SCRATCH_EN: 1
; COMPUTE_PGM_RSRC2:USER_SGPR: 2
; COMPUTE_PGM_RSRC2:TRAP_HANDLER: 0
; COMPUTE_PGM_RSRC2:TGID_X_EN: 1
; COMPUTE_PGM_RSRC2:TGID_Y_EN: 0
; COMPUTE_PGM_RSRC2:TGID_Z_EN: 1
; COMPUTE_PGM_RSRC2:TIDIG_COMP_CNT: 0
; COMPUTE_PGM_RSRC3_GFX90A:ACCUM_OFFSET: 63
; COMPUTE_PGM_RSRC3_GFX90A:TG_SPLIT: 0
	.section	.text._ZN2ck45kernel_gemm_xdl_cshuffle_v3_b_preshuffle_2ldsINS_41GridwiseGemm_xdl_cshuffle_v3_b_preshuffleINS_13tensor_layout4gemm8RowMajorENS3_11ColumnMajorES4_NS_9f8_fnuz_tENS_7pk_i4_tEfDF16_DF16_NS_16tensor_operation12element_wise11PassThroughESA_SA_LNS8_6device18GemmSpecializationE0ELi256ELi256ELi256ELi128ELi16ELi32ELi16ELi16ELi8ELi8ENS_8SequenceIJLi8ELi32ELi1EEEENSD_IJLi1ELi0ELi2EEEESF_Li2ELi16ELi16ELb0ELi0ENSD_IJLi4ELi64ELi1EEEESF_SF_Li2ELi32ELi32ELb0ELi0ELi1ELi1ENSD_IJLi1ELi32ELi1ELi8EEEELi4ELNS_26BlockGemmPipelineSchedulerE0ELNS_24BlockGemmPipelineVersionE2ES6_S6_Lb0ELb0ELi0EEELb1ELNS_25InMemoryDataOperationEnumE0ELi1ELNS_10TailNumberE0EEEvNT_8ArgumentE,"axG",@progbits,_ZN2ck45kernel_gemm_xdl_cshuffle_v3_b_preshuffle_2ldsINS_41GridwiseGemm_xdl_cshuffle_v3_b_preshuffleINS_13tensor_layout4gemm8RowMajorENS3_11ColumnMajorES4_NS_9f8_fnuz_tENS_7pk_i4_tEfDF16_DF16_NS_16tensor_operation12element_wise11PassThroughESA_SA_LNS8_6device18GemmSpecializationE0ELi256ELi256ELi256ELi128ELi16ELi32ELi16ELi16ELi8ELi8ENS_8SequenceIJLi8ELi32ELi1EEEENSD_IJLi1ELi0ELi2EEEESF_Li2ELi16ELi16ELb0ELi0ENSD_IJLi4ELi64ELi1EEEESF_SF_Li2ELi32ELi32ELb0ELi0ELi1ELi1ENSD_IJLi1ELi32ELi1ELi8EEEELi4ELNS_26BlockGemmPipelineSchedulerE0ELNS_24BlockGemmPipelineVersionE2ES6_S6_Lb0ELb0ELi0EEELb1ELNS_25InMemoryDataOperationEnumE0ELi1ELNS_10TailNumberE0EEEvNT_8ArgumentE,comdat
	.protected	_ZN2ck45kernel_gemm_xdl_cshuffle_v3_b_preshuffle_2ldsINS_41GridwiseGemm_xdl_cshuffle_v3_b_preshuffleINS_13tensor_layout4gemm8RowMajorENS3_11ColumnMajorES4_NS_9f8_fnuz_tENS_7pk_i4_tEfDF16_DF16_NS_16tensor_operation12element_wise11PassThroughESA_SA_LNS8_6device18GemmSpecializationE0ELi256ELi256ELi256ELi128ELi16ELi32ELi16ELi16ELi8ELi8ENS_8SequenceIJLi8ELi32ELi1EEEENSD_IJLi1ELi0ELi2EEEESF_Li2ELi16ELi16ELb0ELi0ENSD_IJLi4ELi64ELi1EEEESF_SF_Li2ELi32ELi32ELb0ELi0ELi1ELi1ENSD_IJLi1ELi32ELi1ELi8EEEELi4ELNS_26BlockGemmPipelineSchedulerE0ELNS_24BlockGemmPipelineVersionE2ES6_S6_Lb0ELb0ELi0EEELb1ELNS_25InMemoryDataOperationEnumE0ELi1ELNS_10TailNumberE0EEEvNT_8ArgumentE ; -- Begin function _ZN2ck45kernel_gemm_xdl_cshuffle_v3_b_preshuffle_2ldsINS_41GridwiseGemm_xdl_cshuffle_v3_b_preshuffleINS_13tensor_layout4gemm8RowMajorENS3_11ColumnMajorES4_NS_9f8_fnuz_tENS_7pk_i4_tEfDF16_DF16_NS_16tensor_operation12element_wise11PassThroughESA_SA_LNS8_6device18GemmSpecializationE0ELi256ELi256ELi256ELi128ELi16ELi32ELi16ELi16ELi8ELi8ENS_8SequenceIJLi8ELi32ELi1EEEENSD_IJLi1ELi0ELi2EEEESF_Li2ELi16ELi16ELb0ELi0ENSD_IJLi4ELi64ELi1EEEESF_SF_Li2ELi32ELi32ELb0ELi0ELi1ELi1ENSD_IJLi1ELi32ELi1ELi8EEEELi4ELNS_26BlockGemmPipelineSchedulerE0ELNS_24BlockGemmPipelineVersionE2ES6_S6_Lb0ELb0ELi0EEELb1ELNS_25InMemoryDataOperationEnumE0ELi1ELNS_10TailNumberE0EEEvNT_8ArgumentE
	.globl	_ZN2ck45kernel_gemm_xdl_cshuffle_v3_b_preshuffle_2ldsINS_41GridwiseGemm_xdl_cshuffle_v3_b_preshuffleINS_13tensor_layout4gemm8RowMajorENS3_11ColumnMajorES4_NS_9f8_fnuz_tENS_7pk_i4_tEfDF16_DF16_NS_16tensor_operation12element_wise11PassThroughESA_SA_LNS8_6device18GemmSpecializationE0ELi256ELi256ELi256ELi128ELi16ELi32ELi16ELi16ELi8ELi8ENS_8SequenceIJLi8ELi32ELi1EEEENSD_IJLi1ELi0ELi2EEEESF_Li2ELi16ELi16ELb0ELi0ENSD_IJLi4ELi64ELi1EEEESF_SF_Li2ELi32ELi32ELb0ELi0ELi1ELi1ENSD_IJLi1ELi32ELi1ELi8EEEELi4ELNS_26BlockGemmPipelineSchedulerE0ELNS_24BlockGemmPipelineVersionE2ES6_S6_Lb0ELb0ELi0EEELb1ELNS_25InMemoryDataOperationEnumE0ELi1ELNS_10TailNumberE0EEEvNT_8ArgumentE
	.p2align	8
	.type	_ZN2ck45kernel_gemm_xdl_cshuffle_v3_b_preshuffle_2ldsINS_41GridwiseGemm_xdl_cshuffle_v3_b_preshuffleINS_13tensor_layout4gemm8RowMajorENS3_11ColumnMajorES4_NS_9f8_fnuz_tENS_7pk_i4_tEfDF16_DF16_NS_16tensor_operation12element_wise11PassThroughESA_SA_LNS8_6device18GemmSpecializationE0ELi256ELi256ELi256ELi128ELi16ELi32ELi16ELi16ELi8ELi8ENS_8SequenceIJLi8ELi32ELi1EEEENSD_IJLi1ELi0ELi2EEEESF_Li2ELi16ELi16ELb0ELi0ENSD_IJLi4ELi64ELi1EEEESF_SF_Li2ELi32ELi32ELb0ELi0ELi1ELi1ENSD_IJLi1ELi32ELi1ELi8EEEELi4ELNS_26BlockGemmPipelineSchedulerE0ELNS_24BlockGemmPipelineVersionE2ES6_S6_Lb0ELb0ELi0EEELb1ELNS_25InMemoryDataOperationEnumE0ELi1ELNS_10TailNumberE0EEEvNT_8ArgumentE,@function
_ZN2ck45kernel_gemm_xdl_cshuffle_v3_b_preshuffle_2ldsINS_41GridwiseGemm_xdl_cshuffle_v3_b_preshuffleINS_13tensor_layout4gemm8RowMajorENS3_11ColumnMajorES4_NS_9f8_fnuz_tENS_7pk_i4_tEfDF16_DF16_NS_16tensor_operation12element_wise11PassThroughESA_SA_LNS8_6device18GemmSpecializationE0ELi256ELi256ELi256ELi128ELi16ELi32ELi16ELi16ELi8ELi8ENS_8SequenceIJLi8ELi32ELi1EEEENSD_IJLi1ELi0ELi2EEEESF_Li2ELi16ELi16ELb0ELi0ENSD_IJLi4ELi64ELi1EEEESF_SF_Li2ELi32ELi32ELb0ELi0ELi1ELi1ENSD_IJLi1ELi32ELi1ELi8EEEELi4ELNS_26BlockGemmPipelineSchedulerE0ELNS_24BlockGemmPipelineVersionE2ES6_S6_Lb0ELb0ELi0EEELb1ELNS_25InMemoryDataOperationEnumE0ELi1ELNS_10TailNumberE0EEEvNT_8ArgumentE: ; @_ZN2ck45kernel_gemm_xdl_cshuffle_v3_b_preshuffle_2ldsINS_41GridwiseGemm_xdl_cshuffle_v3_b_preshuffleINS_13tensor_layout4gemm8RowMajorENS3_11ColumnMajorES4_NS_9f8_fnuz_tENS_7pk_i4_tEfDF16_DF16_NS_16tensor_operation12element_wise11PassThroughESA_SA_LNS8_6device18GemmSpecializationE0ELi256ELi256ELi256ELi128ELi16ELi32ELi16ELi16ELi8ELi8ENS_8SequenceIJLi8ELi32ELi1EEEENSD_IJLi1ELi0ELi2EEEESF_Li2ELi16ELi16ELb0ELi0ENSD_IJLi4ELi64ELi1EEEESF_SF_Li2ELi32ELi32ELb0ELi0ELi1ELi1ENSD_IJLi1ELi32ELi1ELi8EEEELi4ELNS_26BlockGemmPipelineSchedulerE0ELNS_24BlockGemmPipelineVersionE2ES6_S6_Lb0ELb0ELi0EEELb1ELNS_25InMemoryDataOperationEnumE0ELi1ELNS_10TailNumberE0EEEvNT_8ArgumentE
; %bb.0:
	s_mov_b32 s24, s2
	s_load_dwordx4 s[28:31], s[0:1], 0x10
	s_load_dwordx2 s[26:27], s[0:1], 0x24
	s_load_dword s10, s[0:1], 0x68
	s_load_dword s2, s[0:1], 0x34
	;; [unrolled: 1-line block ×3, first 2 shown]
	s_load_dwordx2 s[8:9], s[0:1], 0x60
	s_load_dwordx4 s[4:7], s[0:1], 0x50
	s_waitcnt lgkmcnt(0)
	s_cmp_gt_i32 s27, 1
	s_cselect_b64 s[0:1], -1, 0
	s_bitcmp1_b32 s10, 0
	s_cselect_b64 s[10:11], -1, 0
	s_and_b64 s[0:1], s[0:1], s[10:11]
	v_mov_b32_e32 v11, v0
	s_andn2_b64 vcc, exec, s[0:1]
	s_mov_b64 s[10:11], 0
	s_movk_i32 s32, 0xcf0
	s_cbranch_vccnz .LBB5_2
; %bb.1:
	s_mul_i32 s0, s28, s3
	s_mul_i32 s10, s0, s29
	s_ashr_i32 s11, s10, 31
.LBB5_2:
	s_add_i32 s1, s27, -1
	s_mul_i32 s13, s1, s2
	s_sub_i32 s13, s30, s13
	s_mul_i32 s0, s2, s3
	s_cmp_lt_u32 s3, s1
	s_cselect_b32 s1, s2, s13
	s_ashr_i32 s2, s0, 31
	s_add_u32 s18, s4, s0
	s_addc_u32 s2, s5, s2
	s_add_i32 s0, s30, 0x7f
	s_ashr_i32 s4, s0, 31
	s_lshr_b32 s4, s4, 25
	s_add_i32 s13, s28, -1
	s_add_i32 s0, s0, s4
	s_mul_i32 s4, s13, s31
	s_add_i32 s16, s29, 15
	s_ashr_i32 s17, s0, 7
	s_ashr_i32 s5, s4, 31
	;; [unrolled: 1-line block ×3, first 2 shown]
	s_add_u32 s4, s4, s1
	s_addc_u32 s5, s5, s14
	s_mul_i32 s14, s28, s12
	s_lshl_b32 s14, s14, 4
	v_mov_b32_e32 v0, s28
	v_mov_b32_e32 v1, s1
	;; [unrolled: 1-line block ×3, first 2 shown]
	s_ashr_i32 s19, s16, 31
	v_mov_b32_e32 v4, 0
	scratch_store_dwordx3 off, v[0:2], off offset:3200
	scratch_store_dword off, v4, off offset:3212
	v_mov_b32_e32 v7, 16
	v_mov_b32_e32 v1, s14
	s_getpc_b64 s[14:15]
	s_add_u32 s14, s14, _ZN2ck41GridwiseGemm_xdl_cshuffle_v3_b_preshuffleINS_13tensor_layout4gemm8RowMajorENS2_11ColumnMajorES3_NS_9f8_fnuz_tENS_7pk_i4_tEfDF16_DF16_NS_16tensor_operation12element_wise11PassThroughES9_S9_LNS7_6device18GemmSpecializationE0ELi256ELi256ELi256ELi128ELi16ELi32ELi16ELi16ELi8ELi8ENS_8SequenceIJLi8ELi32ELi1EEEENSC_IJLi1ELi0ELi2EEEESE_Li2ELi16ELi16ELb0ELi0ENSC_IJLi4ELi64ELi1EEEESE_SE_Li2ELi32ELi32ELb0ELi0ELi1ELi1ENSC_IJLi1ELi32ELi1ELi8EEEELi4ELNS_26BlockGemmPipelineSchedulerE0ELNS_24BlockGemmPipelineVersionE2ES5_S5_Lb0ELb0ELi0EE5NWaveE@rel32@lo+4
	s_addc_u32 s15, s15, _ZN2ck41GridwiseGemm_xdl_cshuffle_v3_b_preshuffleINS_13tensor_layout4gemm8RowMajorENS2_11ColumnMajorES3_NS_9f8_fnuz_tENS_7pk_i4_tEfDF16_DF16_NS_16tensor_operation12element_wise11PassThroughES9_S9_LNS7_6device18GemmSpecializationE0ELi256ELi256ELi256ELi128ELi16ELi32ELi16ELi16ELi8ELi8ENS_8SequenceIJLi8ELi32ELi1EEEENSC_IJLi1ELi0ELi2EEEESE_Li2ELi16ELi16ELb0ELi0ENSC_IJLi4ELi64ELi1EEEESE_SE_Li2ELi32ELi32ELb0ELi0ELi1ELi1ENSC_IJLi1ELi32ELi1ELi8EEEELi4ELNS_26BlockGemmPipelineSchedulerE0ELNS_24BlockGemmPipelineVersionE2ES5_S5_Lb0ELb0ELi0EE5NWaveE@rel32@hi+12
	s_load_dword s20, s[14:15], 0x0
	s_lshr_b32 s14, s19, 27
	s_add_i32 s16, s16, s14
	s_ashr_i32 s19, s16, 5
	s_add_i32 s16, s19, -1
	s_lshl_b32 s15, s17, 12
	s_waitcnt lgkmcnt(0)
	s_add_i32 s21, s20, -1
	s_lshl_b32 s14, s17, 11
	s_mul_i32 s16, s16, s15
	s_mul_i32 s21, s21, s14
	s_add_i32 s22, s14, 0xfffff800
	s_bitset1_b32 s16, 11
	v_mov_b32_e32 v6, s12
	v_mov_b32_e32 v8, v7
	;; [unrolled: 1-line block ×3, first 2 shown]
	s_ashr_i32 s17, s21, 31
	s_ashr_i32 s23, s22, 31
	;; [unrolled: 1-line block ×3, first 2 shown]
	scratch_store_dwordx3 off, v[6:8], off offset:3216
	scratch_store_byte off, v4, off offset:3228
	scratch_store_dwordx2 off, v[0:1], off offset:3232
	v_mov_b64_e32 v[0:1], s[4:5]
	s_add_u32 s16, s16, s22
	scratch_store_dwordx2 off, v[0:1], off offset:3240
	v_mov_b32_e32 v0, s19
	v_mov_b32_e32 v1, s20
	;; [unrolled: 1-line block ×3, first 2 shown]
	s_addc_u32 s22, s25, s23
	s_mul_i32 s19, s14, s19
	scratch_store_dwordx4 off, v[0:3], off offset:3248
	s_add_u32 s16, s16, s21
	s_mul_i32 s19, s19, s20
	v_mov_b32_e32 v0, s15
	v_mov_b32_e32 v1, s14
	;; [unrolled: 1-line block ×3, first 2 shown]
	s_addc_u32 s17, s22, s17
	scratch_store_dwordx3 off, v[0:2], off offset:3264
	v_mov_b32_e32 v3, s5
	s_mov_b32 s0, 0
	v_mov_b32_e32 v0, s19
	scratch_store_dword off, v0, off offset:3280
	v_mov_b64_e32 v[0:1], s[16:17]
	scratch_store_dwordx2 off, v[0:1], off offset:3288
	v_mov_b32_e32 v0, s18
	v_mov_b32_e32 v1, s2
	;; [unrolled: 1-line block ×3, first 2 shown]
	scratch_store_dwordx4 off, v[0:3], off
	scratch_store_byte off, v4, off offset:16
	s_cmpk_lt_u32 s13, 0x100
	v_mov_b32_e32 v0, s6
	v_mov_b32_e32 v1, s7
	;; [unrolled: 1-line block ×4, first 2 shown]
	scratch_store_dwordx4 off, v[0:3], off offset:24
	scratch_store_byte off, v4, off offset:40
	s_cbranch_scc1 .LBB5_6
; %bb.3:
	s_add_i32 s2, s29, -1
	s_cmpk_lt_u32 s2, 0x100
	s_mov_b32 s2, 0
	s_cbranch_scc1 .LBB5_10
; %bb.4:
	s_add_i32 s2, s28, 0xff
	s_ashr_i32 s4, s2, 31
	s_lshr_b32 s4, s4, 24
	s_add_i32 s2, s2, s4
	s_ashr_i32 s6, s2, 8
	s_add_i32 s2, s29, 0xff
	s_ashr_i32 s4, s2, 31
	s_lshr_b32 s4, s4, 24
	s_add_i32 s2, s2, s4
	s_ashr_i32 s2, s2, 8
	s_mul_i32 s4, s2, s6
	s_add_i32 s5, s4, 7
	s_ashr_i32 s7, s5, 31
	s_lshr_b32 s7, s7, 29
	s_add_i32 s5, s5, s7
	s_ashr_i32 s7, s5, 3
	s_and_b32 s5, s5, -8
	s_sub_i32 s16, s4, s5
	s_ashr_i32 s4, s24, 31
	s_lshr_b32 s4, s4, 29
	s_add_i32 s19, s24, s4
	s_and_b32 s4, s19, -8
	s_add_i32 s16, s16, 8
	s_sub_i32 s18, s24, s4
	s_cmp_gt_i32 s18, s16
	s_cbranch_scc1 .LBB5_7
; %bb.5:
	s_mul_i32 s17, s7, s18
	s_ashr_i32 s4, s19, 3
	s_cbranch_execz .LBB5_8
	s_branch .LBB5_9
.LBB5_6:
	s_mov_b32 s25, 0
	s_branch .LBB5_11
.LBB5_7:
                                        ; implicit-def: $sgpr17
	s_ashr_i32 s4, s19, 3
.LBB5_8:
	s_add_i32 s5, s7, -1
	s_mul_i32 s5, s5, s18
	s_add_i32 s17, s16, s5
.LBB5_9:
	s_abs_i32 s5, s2
	v_cvt_f32_u32_e32 v0, s5
	s_add_i32 s4, s17, s4
	s_sub_i32 s17, 0, s5
	s_abs_i32 s16, s4
	v_rcp_iflag_f32_e32 v0, v0
	s_xor_b32 s7, s4, s2
	s_ashr_i32 s7, s7, 31
	v_mul_f32_e32 v0, 0x4f7ffffe, v0
	v_cvt_u32_f32_e32 v0, v0
	s_nop 0
	v_readfirstlane_b32 s18, v0
	s_mul_i32 s17, s17, s18
	s_mul_hi_u32 s17, s18, s17
	s_add_i32 s18, s18, s17
	s_mul_hi_u32 s17, s16, s18
	s_mul_i32 s18, s17, s5
	s_sub_i32 s16, s16, s18
	s_add_i32 s19, s17, 1
	s_sub_i32 s18, s16, s5
	s_cmp_ge_u32 s16, s5
	s_cselect_b32 s17, s19, s17
	s_cselect_b32 s16, s18, s16
	s_add_i32 s18, s17, 1
	s_cmp_ge_u32 s16, s5
	s_cselect_b32 s5, s18, s17
	s_xor_b32 s5, s5, s7
	s_lshr_b32 s16, s6, 30
	s_sub_i32 s5, s5, s7
	s_add_i32 s16, s6, s16
	s_mul_i32 s7, s5, s2
	s_sub_i32 s4, s4, s7
	s_and_b32 s7, s16, -4
	s_sub_i32 s6, s6, s7
	s_cmp_ge_i32 s5, s7
	s_cselect_b32 s6, s6, 4
	s_abs_i32 s16, s6
	v_cvt_f32_u32_e32 v0, s16
	s_ashr_i32 s7, s5, 31
	s_lshr_b32 s7, s7, 30
	s_add_i32 s7, s5, s7
	v_rcp_iflag_f32_e32 v0, v0
	s_and_b32 s7, s7, -4
	s_sub_i32 s7, s5, s7
	s_sub_i32 s18, 0, s16
	v_mul_f32_e32 v0, 0x4f7ffffe, v0
	v_cvt_u32_f32_e32 v0, v0
	s_mul_i32 s2, s7, s2
	s_add_i32 s4, s2, s4
	s_abs_i32 s17, s4
	v_readfirstlane_b32 s19, v0
	s_mul_i32 s18, s18, s19
	s_mul_hi_u32 s18, s19, s18
	s_add_i32 s19, s19, s18
	s_mul_hi_u32 s18, s17, s19
	s_mul_i32 s19, s18, s16
	s_xor_b32 s2, s4, s6
	s_sub_i32 s17, s17, s19
	s_ashr_i32 s2, s2, 31
	s_add_i32 s19, s18, 1
	s_sub_i32 s20, s17, s16
	s_cmp_ge_u32 s17, s16
	s_cselect_b32 s18, s19, s18
	s_cselect_b32 s17, s20, s17
	s_add_i32 s19, s18, 1
	s_cmp_ge_u32 s17, s16
	s_cselect_b32 s16, s19, s18
	s_xor_b32 s16, s16, s2
	s_sub_i32 s2, s16, s2
	s_mul_i32 s6, s2, s6
	s_sub_i32 s4, s4, s6
	s_add_i32 s4, s4, s5
	s_sub_i32 s24, s4, s7
.LBB5_10:
	s_mov_b32 s25, s24
	s_mov_b32 s24, s2
.LBB5_11:
	s_addk_i32 s1, 0x7f
	s_ashr_i32 s2, s1, 31
	s_lshr_b32 s2, s2, 25
	s_add_i32 s1, s1, s2
	s_ashr_i32 s4, s1, 7
	s_mov_b32 s1, s0
	s_mul_i32 s4, s4, s3
	s_mov_b32 s2, s0
	s_mov_b32 s3, s0
	v_mov_b64_e32 v[0:1], s[0:1]
	v_mov_b64_e32 v[2:3], s[2:3]
	scratch_store_short off, v4, off offset:176
	scratch_store_dwordx4 off, v[0:3], off offset:160
	scratch_store_dwordx4 off, v[0:3], off offset:144
	;; [unrolled: 1-line block ×8, first 2 shown]
	scratch_store_short off, v4, off offset:320
	scratch_store_dwordx4 off, v[0:3], off offset:192
	scratch_store_dwordx4 off, v[0:3], off offset:208
	;; [unrolled: 1-line block ×8, first 2 shown]
	scratch_store_byte off, v4, off offset:464
	scratch_store_dwordx4 off, v[0:3], off offset:448
	scratch_store_dwordx4 off, v[0:3], off offset:432
	;; [unrolled: 1-line block ×16, first 2 shown]
	scratch_store_byte off, v4, off offset:594
	scratch_store_short off, v4, off offset:736
	scratch_store_dwordx4 off, v[0:3], off offset:720
	scratch_store_dwordx4 off, v[0:3], off offset:704
	;; [unrolled: 1-line block ×8, first 2 shown]
	v_and_b32_e32 v9, 0x3f8, v11
	v_lshl_or_b32 v5, s25, 8, v9
	v_and_b32_e32 v3, 7, v11
	v_lshlrev_b32_e32 v2, 4, v3
	v_mad_u64_u32 v[0:1], s[0:1], v5, s31, v[2:3]
	s_lshl_b32 s5, s24, 3
	v_mov_b32_e32 v1, v5
	v_lshl_or_b32 v6, v9, 7, v2
	s_mov_b64 s[6:7], src_shared_base
	scratch_store_dwordx4 off, v[0:3], off offset:752
	scratch_store_dwordx3 off, v[4:6], off offset:768
	v_mov_b32_e32 v8, v3
	v_mov_b32_e32 v10, v4
	v_mov_b32_e32 v0, v9
	v_mov_b32_e32 v1, v3
	v_mov_b32_e32 v2, v4
	v_mov_b32_e32 v5, v9
	v_mov_b32_e32 v6, v4
	s_getpc_b64 s[0:1]
	s_add_u32 s0, s0, __const._ZN2ck41GridwiseGemm_xdl_cshuffle_v3_b_preshuffleINS_13tensor_layout4gemm8RowMajorENS2_11ColumnMajorES3_NS_9f8_fnuz_tENS_7pk_i4_tEfDF16_DF16_NS_16tensor_operation12element_wise11PassThroughES9_S9_LNS7_6device18GemmSpecializationE0ELi256ELi256ELi256ELi128ELi16ELi32ELi16ELi16ELi8ELi8ENS_8SequenceIJLi8ELi32ELi1EEEENSC_IJLi1ELi0ELi2EEEESE_Li2ELi16ELi16ELb0ELi0ENSC_IJLi4ELi64ELi1EEEESE_SE_Li2ELi32ELi32ELb0ELi0ELi1ELi1ENSC_IJLi1ELi32ELi1ELi8EEEELi4ELNS_26BlockGemmPipelineSchedulerE0ELNS_24BlockGemmPipelineVersionE2ES5_S5_Lb0ELb0ELi0EE8Run_2LdsIKNS_16TensorDescriptorINS_5TupleIJNS_5EmbedINSM_IJiiEEENSM_IJiNS_17integral_constantIiLi1EEEEEELb0EEENS_7UnMergeISO_Lb0EEENS_11PassThroughIiEEEEENSM_IJNSC_IJLi0EEEENSC_IJLi2EEEENSC_IJLi1EEEEEEENSM_IJNSC_IJLi1ELi2EEEENSC_IJLi3ELi4EEEENSC_IJLi5EEEEEEENSC_IJLi3ELi5ELi4EEEElEEKNSL_INSM_IJNSN_INSM_IJiiiiEEENSM_IJiiiSQ_EEELb0EEEEEENSM_IJSY_EEENSM_IJNSC_IJLi1ELi2ELi3ELi4EEEEEEES1E_lEEKNSL_INSM_IJSS_NS_8RightPadIiiLb0EEES1J_NST_INSM_IJiNSP_IiLi256EEEEEELb0EEES1M_EEENSM_IJSY_S10_SZ_NSC_IJLi3EEEENSC_IJLi4EEEEEEENSM_IJS12_S1O_S1P_NSC_IJLi5ELi6EEEENSC_IJLi7ELi8EEEEEEENSC_IJLi5ELi6ELi7ELi8EEEElEELb1ELNS_25InMemoryDataOperationEnumE0ELNS_10TailNumberE0EEEvPKS5_PKS6_PDF16_PvS24_RKNSJ_7ProblemERKT_RKT0_RKT1_i.a_block_slice_copy_step@rel32@lo+4
	s_addc_u32 s1, s1, __const._ZN2ck41GridwiseGemm_xdl_cshuffle_v3_b_preshuffleINS_13tensor_layout4gemm8RowMajorENS2_11ColumnMajorES3_NS_9f8_fnuz_tENS_7pk_i4_tEfDF16_DF16_NS_16tensor_operation12element_wise11PassThroughES9_S9_LNS7_6device18GemmSpecializationE0ELi256ELi256ELi256ELi128ELi16ELi32ELi16ELi16ELi8ELi8ENS_8SequenceIJLi8ELi32ELi1EEEENSC_IJLi1ELi0ELi2EEEESE_Li2ELi16ELi16ELb0ELi0ENSC_IJLi4ELi64ELi1EEEESE_SE_Li2ELi32ELi32ELb0ELi0ELi1ELi1ENSC_IJLi1ELi32ELi1ELi8EEEELi4ELNS_26BlockGemmPipelineSchedulerE0ELNS_24BlockGemmPipelineVersionE2ES5_S5_Lb0ELb0ELi0EE8Run_2LdsIKNS_16TensorDescriptorINS_5TupleIJNS_5EmbedINSM_IJiiEEENSM_IJiNS_17integral_constantIiLi1EEEEEELb0EEENS_7UnMergeISO_Lb0EEENS_11PassThroughIiEEEEENSM_IJNSC_IJLi0EEEENSC_IJLi2EEEENSC_IJLi1EEEEEEENSM_IJNSC_IJLi1ELi2EEEENSC_IJLi3ELi4EEEENSC_IJLi5EEEEEEENSC_IJLi3ELi5ELi4EEEElEEKNSL_INSM_IJNSN_INSM_IJiiiiEEENSM_IJiiiSQ_EEELb0EEEEEENSM_IJSY_EEENSM_IJNSC_IJLi1ELi2ELi3ELi4EEEEEEES1E_lEEKNSL_INSM_IJSS_NS_8RightPadIiiLb0EEES1J_NST_INSM_IJiNSP_IiLi256EEEEEELb0EEES1M_EEENSM_IJSY_S10_SZ_NSC_IJLi3EEEENSC_IJLi4EEEEEEENSM_IJS12_S1O_S1P_NSC_IJLi5ELi6EEEENSC_IJLi7ELi8EEEEEEENSC_IJLi5ELi6ELi7ELi8EEEElEELb1ELNS_25InMemoryDataOperationEnumE0ELNS_10TailNumberE0EEEvPKS5_PKS6_PDF16_PvS24_RKNSJ_7ProblemERKT_RKT0_RKT1_i.a_block_slice_copy_step@rel32@hi+12
	scratch_store_dwordx3 off, v[8:10], off offset:780
	scratch_store_dwordx4 off, v[0:3], off offset:792
	scratch_store_dwordx3 off, v[4:6], off offset:808
	scratch_store_dwordx3 off, v[8:10], off offset:820
	v_mov_b32_e32 v7, s7
	v_mov_b32_e32 v5, s7
	s_load_dwordx2 s[6:7], s[0:1], 0x0
	s_getpc_b64 s[16:17]
	s_add_u32 s16, s16, __const._ZN2ck41GridwiseGemm_xdl_cshuffle_v3_b_preshuffleINS_13tensor_layout4gemm8RowMajorENS2_11ColumnMajorES3_NS_9f8_fnuz_tENS_7pk_i4_tEfDF16_DF16_NS_16tensor_operation12element_wise11PassThroughES9_S9_LNS7_6device18GemmSpecializationE0ELi256ELi256ELi256ELi128ELi16ELi32ELi16ELi16ELi8ELi8ENS_8SequenceIJLi8ELi32ELi1EEEENSC_IJLi1ELi0ELi2EEEESE_Li2ELi16ELi16ELb0ELi0ENSC_IJLi4ELi64ELi1EEEESE_SE_Li2ELi32ELi32ELb0ELi0ELi1ELi1ENSC_IJLi1ELi32ELi1ELi8EEEELi4ELNS_26BlockGemmPipelineSchedulerE0ELNS_24BlockGemmPipelineVersionE2ES5_S5_Lb0ELb0ELi0EE8Run_2LdsIKNS_16TensorDescriptorINS_5TupleIJNS_5EmbedINSM_IJiiEEENSM_IJiNS_17integral_constantIiLi1EEEEEELb0EEENS_7UnMergeISO_Lb0EEENS_11PassThroughIiEEEEENSM_IJNSC_IJLi0EEEENSC_IJLi2EEEENSC_IJLi1EEEEEEENSM_IJNSC_IJLi1ELi2EEEENSC_IJLi3ELi4EEEENSC_IJLi5EEEEEEENSC_IJLi3ELi5ELi4EEEElEEKNSL_INSM_IJNSN_INSM_IJiiiiEEENSM_IJiiiSQ_EEELb0EEEEEENSM_IJSY_EEENSM_IJNSC_IJLi1ELi2ELi3ELi4EEEEEEES1E_lEEKNSL_INSM_IJSS_NS_8RightPadIiiLb0EEES1J_NST_INSM_IJiNSP_IiLi256EEEEEELb0EEES1M_EEENSM_IJSY_S10_SZ_NSC_IJLi3EEEENSC_IJLi4EEEEEEENSM_IJS12_S1O_S1P_NSC_IJLi5ELi6EEEENSC_IJLi7ELi8EEEEEEENSC_IJLi5ELi6ELi7ELi8EEEElEELb1ELNS_25InMemoryDataOperationEnumE0ELNS_10TailNumberE0EEEvPKS5_PKS6_PDF16_PvS24_RKNSJ_7ProblemERKT_RKT0_RKT1_i.b_block_slice_copy_step@rel32@lo+4
	s_addc_u32 s17, s17, __const._ZN2ck41GridwiseGemm_xdl_cshuffle_v3_b_preshuffleINS_13tensor_layout4gemm8RowMajorENS2_11ColumnMajorES3_NS_9f8_fnuz_tENS_7pk_i4_tEfDF16_DF16_NS_16tensor_operation12element_wise11PassThroughES9_S9_LNS7_6device18GemmSpecializationE0ELi256ELi256ELi256ELi128ELi16ELi32ELi16ELi16ELi8ELi8ENS_8SequenceIJLi8ELi32ELi1EEEENSC_IJLi1ELi0ELi2EEEESE_Li2ELi16ELi16ELb0ELi0ENSC_IJLi4ELi64ELi1EEEESE_SE_Li2ELi32ELi32ELb0ELi0ELi1ELi1ENSC_IJLi1ELi32ELi1ELi8EEEELi4ELNS_26BlockGemmPipelineSchedulerE0ELNS_24BlockGemmPipelineVersionE2ES5_S5_Lb0ELb0ELi0EE8Run_2LdsIKNS_16TensorDescriptorINS_5TupleIJNS_5EmbedINSM_IJiiEEENSM_IJiNS_17integral_constantIiLi1EEEEEELb0EEENS_7UnMergeISO_Lb0EEENS_11PassThroughIiEEEEENSM_IJNSC_IJLi0EEEENSC_IJLi2EEEENSC_IJLi1EEEEEEENSM_IJNSC_IJLi1ELi2EEEENSC_IJLi3ELi4EEEENSC_IJLi5EEEEEEENSC_IJLi3ELi5ELi4EEEElEEKNSL_INSM_IJNSN_INSM_IJiiiiEEENSM_IJiiiSQ_EEELb0EEEEEENSM_IJSY_EEENSM_IJNSC_IJLi1ELi2ELi3ELi4EEEEEEES1E_lEEKNSL_INSM_IJSS_NS_8RightPadIiiLb0EEES1J_NST_INSM_IJiNSP_IiLi256EEEEEELb0EEES1M_EEENSM_IJSY_S10_SZ_NSC_IJLi3EEEENSC_IJLi4EEEEEEENSM_IJS12_S1O_S1P_NSC_IJLi5ELi6EEEENSC_IJLi7ELi8EEEEEEENSC_IJLi5ELi6ELi7ELi8EEEElEELb1ELNS_25InMemoryDataOperationEnumE0ELNS_10TailNumberE0EEEvPKS5_PKS6_PDF16_PvS24_RKNSJ_7ProblemERKT_RKT0_RKT1_i.b_block_slice_copy_step@rel32@hi+12
	s_load_dwordx4 s[0:3], s[16:17], 0x0
	v_lshlrev_b32_e32 v0, 5, v11
	v_and_b32_e32 v1, 0x7e0, v0
	v_mov_b32_e32 v0, s5
	scratch_store_dword off, v0, off offset:852
	v_mov_b32_e32 v0, s4
	v_mov_b32_e32 v6, 0x8000
	scratch_store_dwordx2 off, v[0:1], off offset:860
	scratch_store_dwordx2 off, v[4:5], off offset:872
	scratch_store_byte off, v4, off offset:881
	scratch_store_dwordx2 off, v[6:7], off offset:888
	scratch_store_byte off, v4, off offset:897
	s_waitcnt lgkmcnt(0)
	v_mov_b64_e32 v[6:7], s[6:7]
	scratch_store_dwordx2 off, v[6:7], off offset:904
	v_mov_b64_e32 v[8:9], s[2:3]
	v_mov_b32_e32 v0, 0
	v_mov_b64_e32 v[6:7], s[0:1]
	s_mov_b32 s0, 1
	scratch_store_dword off, v0, off offset:912
	scratch_store_dwordx4 off, v[6:9], off offset:916
.LBB5_12:                               ; =>This Inner Loop Header: Depth=1
	s_add_i32 s1, s0, 0x3b0
	s_add_i32 s1, s1, -1
	scratch_store_byte off, v4, s1
	s_add_i32 s1, s0, 1
	s_cmpk_lt_u32 s0, 0x4d0
	s_mov_b32 s0, s1
	s_cbranch_scc1 .LBB5_12
; %bb.13:
	s_mov_b64 s[0:1], src_private_base
	s_lshl_b64 s[2:3], s[10:11], 1
	v_lshrrev_b32_e32 v0, 6, v11
	s_add_u32 s36, s8, s2
	s_mul_i32 s0, s13, s26
	s_mul_hi_u32 s33, 0, s26
	v_lshlrev_b32_e32 v2, 1, v11
	v_and_b32_e32 v0, 1, v0
	s_addc_u32 s27, s9, s3
	s_add_i32 s33, s33, s0
	s_mul_i32 s0, s5, s15
	s_lshl_b32 s2, s4, 11
	v_and_b32_e32 v15, 0x60, v2
	v_mul_lo_u32 v2, s14, v0
	v_lshrrev_b32_e32 v12, 7, v11
	v_and_b32_e32 v13, 15, v11
	v_or_b32_e32 v1, v2, v1
	s_add_i32 s0, s0, s2
	v_lshrrev_b32_e32 v9, 4, v15
	v_add_u32_e32 v1, s0, v1
	v_lshl_or_b32 v6, v12, 4, v13
	v_xor_b32_e32 v5, v9, v3
	scratch_store_dword off, v9, off offset:1996
	scratch_store_dword off, v15, off offset:2024
	;; [unrolled: 1-line block ×5, first 2 shown]
	v_lshlrev_b32_e32 v1, 7, v6
	v_lshl_or_b32 v4, v5, 4, v1
	scratch_store_dwordx3 off, v[4:6], off offset:1968
	v_mov_b32_e32 v8, v6
	v_lshl_or_b32 v2, v0, 4, v13
	v_mov_b32_e32 v4, v9
	v_mov_b32_e32 v5, v6
	v_bfe_u32 v7, v11, 4, 2
	scratch_store_dwordx2 off, v[8:9], off offset:1984
	scratch_store_dword off, v6, off offset:2004
	scratch_store_dwordx2 off, v[4:5], off offset:2012
	v_or_b32_e32 v4, v2, v15
	v_lshlrev_b32_e32 v5, 1, v7
	v_lshlrev_b32_e32 v14, 5, v4
	v_xor_b32_e32 v3, v5, v3
	scratch_store_dwordx4 off, v[12:15], off offset:2032
	scratch_store_dword off, v2, off offset:2048
	v_lshl_or_b32 v2, v3, 4, v1
	v_mov_b32_e32 v1, v13
	s_mov_b32 s4, 0
	s_ashr_i32 s0, s12, 31
	scratch_store_dwordx4 off, v[0:3], off offset:2068
	scratch_store_dword off, v6, off offset:2084
	v_mov_b32_e32 v4, v6
	v_mov_b32_e32 v0, v5
	;; [unrolled: 1-line block ×3, first 2 shown]
	s_mov_b32 s5, s4
	s_lshr_b32 s0, s0, 29
	v_lshlrev_b32_e32 v8, 5, v7
	scratch_store_dwordx2 off, v[4:5], off offset:2092
	scratch_store_dword off, v5, off offset:2104
	scratch_store_dword off, v6, off offset:2112
	scratch_store_dwordx2 off, v[0:1], off offset:2120
	scratch_store_dword off, v8, off offset:2132
	scratch_store_dwordx2 off, v[12:13], off offset:2140
	scratch_store_dwordx2 off, v[12:13], off offset:2152
	s_mov_b32 s6, s4
	s_mov_b32 s7, s4
	v_mov_b64_e32 v[0:1], s[4:5]
	s_add_i32 s12, s12, s0
	v_mov_b64_e32 v[2:3], s[6:7]
	s_ashr_i32 s0, s12, 3
	v_accvgpr_write_b32 a49, v13
	scratch_store_dword off, v7, off offset:2164
	scratch_store_dwordx4 off, v[0:3], off offset:3184
	scratch_store_dwordx4 off, v[0:3], off offset:3168
	;; [unrolled: 1-line block ×64, first 2 shown]
	s_getpc_b64 s[2:3]
	s_add_u32 s2, s2, _ZNK2ck52BlockwiseGemmXdlops_pipeline_bpreshuffle_bdequant_v3ILNS_26BlockGemmPipelineSchedulerE0ELi256ENS_9f8_fnuz_tENS_7pk_i4_tES2_fNS_16TensorDescriptorINS_5TupleIJNS_5EmbedINS5_IJNS_17integral_constantIiLi8EEENS7_IiLi256EEENS7_IiLi16EEEEEENS5_IJSA_NS7_IiLi128EEENS7_IiLi1EEEEEELb0EEENS_3XorINS5_IJS9_S8_EEELb1EEENS_11PassThroughISA_EENS_7UnMergeINS5_IJS8_SD_EEELb0EEENSJ_IS9_EESK_NSJ_IS8_EENS_21Merge_v3_division_modINS5_IJS9_SD_EEEEESK_EEENS5_IJNS_8SequenceIJLi0EEEENSU_IJLi2ELi1EEEENSU_IJLi3EEEENSU_IJLi5EEEENSU_IJLi4EEEENSU_IJLi6EEEENSU_IJLi7EEEENSU_IJLi9ELi8EEEENSU_IJLi10EEEEEEENS5_IJNSU_IJLi1ELi2ELi3EEEENSU_IJLi4ELi5EEEES10_NSU_IJLi7ELi8EEEENSU_IJLi9EEEES13_NSU_IJLi11EEEENSU_IJLi12EEEENSU_IJLi13EEEEEEENSU_IJLi11ELi12ELi13EEEENS7_IlLl32768EEEEENS4_INS5_IJNSL_INS5_IJS8_SD_SD_NS7_IiLi32EEEEEELb0EEEEEENS5_IJSV_EEENS5_IJNSU_IJLi1ELi2ELi3ELi4EEEEEEES1L_NS7_IlLl256EEEEENS4_INS5_IJSF_SI_SK_SN_SO_SK_SP_SS_SK_NSQ_INS5_IJS8_SA_EEEEENSL_INS5_IJS8_NS7_IiLi2EEESA_EEELb0EEEEEENS5_IJSV_SW_SX_SY_SZ_S10_S11_S12_S13_NSU_IJLi11ELi13EEEES1A_EEENS5_IJS15_S16_S10_S17_S18_S13_S19_S1A_S1B_NSU_IJLi14EEEENSU_IJLi15ELi16ELi17EEEEEEENSU_IJLi15ELi16ELi17ELi14EEEES1E_EENS4_INS5_IJS1I_NSQ_ISM_EES1T_EEENS5_IJSV_NSU_IJLi1ELi3EEEENSU_IJLi2EEEEEEENS5_IJS1L_SY_NSU_IJLi6ELi7ELi8EEEEEEENSU_IJLi6ELi7ELi8ELi5EEEES1N_EELi16ELi32ELi256ELi256ELi128ELi16ELi16ELi8ELi8ELi32ELb0EE3RunILb1ELNS_10TailNumberE0ENS4_INS5_IJNS6_INS5_IJiiEEENS5_IJiSD_EEELb0EEENSL_IS2E_Lb0EEENSJ_IiEEEEENS5_IJSV_S25_NSU_IJLi1EEEEEEENS5_IJNSU_IJLi1ELi2EEEENSU_IJLi3ELi4EEEESY_EEENSU_IJLi3ELi5ELi4EEEElEES1F_NS_35ThreadGroupTensorSliceTransfer_v4r1INS_15ThisThreadBlockILi256EEENS_16tensor_operation12element_wise11PassThroughES2W_LNS_25InMemoryDataOperationEnumE0ENSU_IJLi8ELi256ELi16EEEENSU_IJLi8ELi32ELi1EEEENSU_IJLi1ELi0ELi2EEEES2_S2_RKS2Q_KS1F_S30_NSU_IJLi0ELi1ELi2EEEELi2ELi2ELi16ELi16ELi1ELi1ELb0ELb1ELi2EiEENS_13DynamicBufferILNS_16AddressSpaceEnumE1EKS2_lLb1ELNS_22AmdBufferCoherenceEnumE0EiEENS5_IJNS36_ILS37_2ES2_S1E_Lb1ELS39_0EiEES3B_EEENS5_IJiiiEEENS4_INS5_IJNS6_INS5_IJiiiiEEENS5_IJiiiSD_EEELb0EEEEEES1K_S1M_S1L_lEENS_32ThreadwiseTensorSliceTransfer_v2IS3_S3_RKS3I_KS1O_NSU_IJLi8ELi1ELi1ELi32EEEENSU_IJLi1ELi2ELi0ELi3EEEELi3ELi32ELi0ELb1ELb0ELb0EEENS36_ILS37_1EKS3_lLb1ELS39_0EiEENS5_IJNS_12StaticBufferILS37_4ES3_Li256ELb1EEES3T_EEES3E_NS_25StaticBufferTupleOfVectorILS37_4EfLi64ELi4ELb1ELb0EEEEEvRKT1_RKT2_RT3_RKT4_RT5_RKT6_RKT7_RT8_RKT9_RT10_RKT11_RT12_i@rel32@lo+4
	s_addc_u32 s3, s3, _ZNK2ck52BlockwiseGemmXdlops_pipeline_bpreshuffle_bdequant_v3ILNS_26BlockGemmPipelineSchedulerE0ELi256ENS_9f8_fnuz_tENS_7pk_i4_tES2_fNS_16TensorDescriptorINS_5TupleIJNS_5EmbedINS5_IJNS_17integral_constantIiLi8EEENS7_IiLi256EEENS7_IiLi16EEEEEENS5_IJSA_NS7_IiLi128EEENS7_IiLi1EEEEEELb0EEENS_3XorINS5_IJS9_S8_EEELb1EEENS_11PassThroughISA_EENS_7UnMergeINS5_IJS8_SD_EEELb0EEENSJ_IS9_EESK_NSJ_IS8_EENS_21Merge_v3_division_modINS5_IJS9_SD_EEEEESK_EEENS5_IJNS_8SequenceIJLi0EEEENSU_IJLi2ELi1EEEENSU_IJLi3EEEENSU_IJLi5EEEENSU_IJLi4EEEENSU_IJLi6EEEENSU_IJLi7EEEENSU_IJLi9ELi8EEEENSU_IJLi10EEEEEEENS5_IJNSU_IJLi1ELi2ELi3EEEENSU_IJLi4ELi5EEEES10_NSU_IJLi7ELi8EEEENSU_IJLi9EEEES13_NSU_IJLi11EEEENSU_IJLi12EEEENSU_IJLi13EEEEEEENSU_IJLi11ELi12ELi13EEEENS7_IlLl32768EEEEENS4_INS5_IJNSL_INS5_IJS8_SD_SD_NS7_IiLi32EEEEEELb0EEEEEENS5_IJSV_EEENS5_IJNSU_IJLi1ELi2ELi3ELi4EEEEEEES1L_NS7_IlLl256EEEEENS4_INS5_IJSF_SI_SK_SN_SO_SK_SP_SS_SK_NSQ_INS5_IJS8_SA_EEEEENSL_INS5_IJS8_NS7_IiLi2EEESA_EEELb0EEEEEENS5_IJSV_SW_SX_SY_SZ_S10_S11_S12_S13_NSU_IJLi11ELi13EEEES1A_EEENS5_IJS15_S16_S10_S17_S18_S13_S19_S1A_S1B_NSU_IJLi14EEEENSU_IJLi15ELi16ELi17EEEEEEENSU_IJLi15ELi16ELi17ELi14EEEES1E_EENS4_INS5_IJS1I_NSQ_ISM_EES1T_EEENS5_IJSV_NSU_IJLi1ELi3EEEENSU_IJLi2EEEEEEENS5_IJS1L_SY_NSU_IJLi6ELi7ELi8EEEEEEENSU_IJLi6ELi7ELi8ELi5EEEES1N_EELi16ELi32ELi256ELi256ELi128ELi16ELi16ELi8ELi8ELi32ELb0EE3RunILb1ELNS_10TailNumberE0ENS4_INS5_IJNS6_INS5_IJiiEEENS5_IJiSD_EEELb0EEENSL_IS2E_Lb0EEENSJ_IiEEEEENS5_IJSV_S25_NSU_IJLi1EEEEEEENS5_IJNSU_IJLi1ELi2EEEENSU_IJLi3ELi4EEEESY_EEENSU_IJLi3ELi5ELi4EEEElEES1F_NS_35ThreadGroupTensorSliceTransfer_v4r1INS_15ThisThreadBlockILi256EEENS_16tensor_operation12element_wise11PassThroughES2W_LNS_25InMemoryDataOperationEnumE0ENSU_IJLi8ELi256ELi16EEEENSU_IJLi8ELi32ELi1EEEENSU_IJLi1ELi0ELi2EEEES2_S2_RKS2Q_KS1F_S30_NSU_IJLi0ELi1ELi2EEEELi2ELi2ELi16ELi16ELi1ELi1ELb0ELb1ELi2EiEENS_13DynamicBufferILNS_16AddressSpaceEnumE1EKS2_lLb1ELNS_22AmdBufferCoherenceEnumE0EiEENS5_IJNS36_ILS37_2ES2_S1E_Lb1ELS39_0EiEES3B_EEENS5_IJiiiEEENS4_INS5_IJNS6_INS5_IJiiiiEEENS5_IJiiiSD_EEELb0EEEEEES1K_S1M_S1L_lEENS_32ThreadwiseTensorSliceTransfer_v2IS3_S3_RKS3I_KS1O_NSU_IJLi8ELi1ELi1ELi32EEEENSU_IJLi1ELi2ELi0ELi3EEEELi3ELi32ELi0ELb1ELb0ELb0EEENS36_ILS37_1EKS3_lLb1ELS39_0EiEENS5_IJNS_12StaticBufferILS37_4ES3_Li256ELb1EEES3T_EEES3E_NS_25StaticBufferTupleOfVectorILS37_4EfLi64ELi4ELb1ELb0EEEEEvRKT1_RKT2_RT3_RKT4_RT5_RKT6_RKT7_RT8_RKT9_RT10_RKT11_RT12_i@rel32@hi+12
	v_mov_b32_e32 v0, 0x3b0
	v_mov_b32_e32 v1, s1
	;; [unrolled: 1-line block ×11, first 2 shown]
	v_accvgpr_write_b32 a48, v11
	v_mov_b32_e32 v11, s1
	v_mov_b32_e32 v12, 0xcb0
	;; [unrolled: 1-line block ×12, first 2 shown]
	s_swappc_b64 s[30:31], s[2:3]
	s_waitcnt lgkmcnt(0)
	s_barrier
	scratch_load_dwordx4 v[6:9], off, off offset:2176
	v_accvgpr_read_b32 v2, a48
	v_lshrrev_b32_e32 v0, 2, v2
	v_lshlrev_b32_e32 v1, 2, v2
	v_lshrrev_b32_e32 v3, 3, v2
	v_accvgpr_read_b32 v11, a49
	v_and_b32_e32 v0, 12, v0
	v_and_b32_e32 v1, 28, v1
	v_lshrrev_b32_e32 v5, 1, v2
	v_lshlrev_b32_e32 v11, 1, v11
	s_add_i32 s0, s29, s33
	v_lshl_or_b32 v4, s25, 8, v3
	v_and_or_b32 v12, v3, 16, v0
	v_lshl_or_b32 v10, s24, 8, v1
	v_and_b32_e32 v5, 32, v5
	s_lshl_b32 s38, s0, 1
	v_lshlrev_b32_e32 v13, 1, v1
	v_mad_u64_u32 v[0:1], s[0:1], v4, s26, v[10:11]
	v_lshlrev_b32_e32 v12, 6, v12
	v_lshl_or_b32 v1, v3, 6, v13
	v_or3_b32 v3, v5, v12, v11
	v_cmp_gt_i32_e64 s[14:15], s28, v4
	v_cmp_gt_i32_e32 vcc, s29, v10
	v_bfrev_b32_e32 v2, 1
	s_and_b64 s[0:1], s[14:15], vcc
	s_and_b32 s37, s27, 0xffff
	s_mov_b32 s39, 0x20000
	v_or_b32_e32 v11, 32, v10
	s_lshl_b32 s18, s26, 5
	s_waitcnt vmcnt(0)
	v_cvt_f16_f32_e32 v5, v6
	v_cvt_f16_f32_e32 v6, v7
	;; [unrolled: 1-line block ×4, first 2 shown]
	ds_write_b16 v3, v5
	ds_write_b16 v3, v6 offset:64
	ds_write_b16 v3, v7 offset:128
	;; [unrolled: 1-line block ×3, first 2 shown]
	s_waitcnt lgkmcnt(0)
	s_barrier
	ds_read_b64 v[6:7], v1
	v_lshlrev_b32_e32 v5, 1, v0
	v_cndmask_b32_e64 v8, v2, 0, s[0:1]
	v_add_u32_e32 v8, v8, v5
	v_cmp_gt_i32_e64 s[0:1], s29, v11
	s_waitcnt lgkmcnt(0)
	buffer_store_dwordx2 v[6:7], v8, s[36:39], 0 offen
	s_waitcnt lgkmcnt(0)
	s_barrier
	scratch_load_dwordx4 v[6:9], off, off offset:2192
	s_and_b64 s[2:3], s[14:15], s[0:1]
	v_or_b32_e32 v11, 64, v10
	s_waitcnt vmcnt(0)
	v_cvt_f16_f32_e32 v6, v6
	v_cvt_f16_f32_e32 v7, v7
	v_cvt_f16_f32_e32 v8, v8
	v_cvt_f16_f32_e32 v9, v9
	ds_write_b16 v3, v6
	ds_write_b16 v3, v7 offset:64
	ds_write_b16 v3, v8 offset:128
	ds_write_b16 v3, v9 offset:192
	s_waitcnt lgkmcnt(0)
	s_barrier
	ds_read_b64 v[6:7], v1
	v_cndmask_b32_e64 v8, v2, 0, s[2:3]
	v_add_u32_e32 v8, v5, v8
	v_cmp_gt_i32_e64 s[2:3], s29, v11
	s_and_b64 s[4:5], s[14:15], s[2:3]
	s_waitcnt lgkmcnt(0)
	buffer_store_dwordx2 v[6:7], v8, s[36:39], 0 offen offset:64
	s_waitcnt lgkmcnt(0)
	s_barrier
	scratch_load_dwordx4 v[6:9], off, off offset:2208
	v_or_b32_e32 v11, 0x60, v10
	s_waitcnt vmcnt(0)
	v_cvt_f16_f32_e32 v6, v6
	v_cvt_f16_f32_e32 v7, v7
	v_cvt_f16_f32_e32 v8, v8
	v_cvt_f16_f32_e32 v9, v9
	ds_write_b16 v3, v6
	ds_write_b16 v3, v7 offset:64
	ds_write_b16 v3, v8 offset:128
	ds_write_b16 v3, v9 offset:192
	s_waitcnt lgkmcnt(0)
	s_barrier
	ds_read_b64 v[6:7], v1
	v_cndmask_b32_e64 v8, v2, 0, s[4:5]
	v_add_u32_e32 v8, v5, v8
	v_cmp_gt_i32_e64 s[4:5], s29, v11
	s_and_b64 s[6:7], s[14:15], s[4:5]
	s_waitcnt lgkmcnt(0)
	buffer_store_dwordx2 v[6:7], v8, s[36:39], 0 offen offset:128
	s_waitcnt lgkmcnt(0)
	s_barrier
	scratch_load_dwordx4 v[6:9], off, off offset:2224
	;; [unrolled: 22-line block ×5, first 2 shown]
	s_waitcnt vmcnt(0)
	v_cvt_f16_f32_e32 v6, v6
	v_cvt_f16_f32_e32 v7, v7
	;; [unrolled: 1-line block ×4, first 2 shown]
	ds_write_b16 v3, v6
	ds_write_b16 v3, v7 offset:64
	ds_write_b16 v3, v8 offset:128
	;; [unrolled: 1-line block ×3, first 2 shown]
	s_waitcnt lgkmcnt(0)
	s_barrier
	ds_read_b64 v[6:7], v1
	v_cndmask_b32_e64 v8, v2, 0, s[12:13]
	v_add_u32_e32 v5, v5, v8
	s_waitcnt lgkmcnt(0)
	buffer_store_dwordx2 v[6:7], v5, s[36:39], 0 offen offset:384
	s_waitcnt lgkmcnt(0)
	s_barrier
	scratch_load_dwordx4 v[6:9], off, off offset:2288
	v_or_b32_e32 v5, 0xe0, v10
	v_cmp_gt_i32_e64 s[12:13], s29, v5
	s_and_b64 s[14:15], s[14:15], s[12:13]
	v_add_u32_e32 v10, 0xe0, v0
	v_cndmask_b32_e64 v5, v2, 0, s[14:15]
	v_lshl_add_u32 v5, v10, 1, v5
	v_add_lshl_u32 v20, v10, s18, 1
	v_add_u32_e32 v0, s18, v0
	v_add_u32_e32 v32, s18, v0
	v_lshlrev_b32_e32 v30, 1, v32
	v_add_u32_e32 v33, 0xe0, v32
	v_add_u32_e32 v32, s18, v32
	s_waitcnt vmcnt(0)
	v_cvt_f16_f32_e32 v6, v6
	v_cvt_f16_f32_e32 v7, v7
	;; [unrolled: 1-line block ×4, first 2 shown]
	ds_write_b16 v3, v6
	ds_write_b16 v3, v7 offset:64
	ds_write_b16 v3, v8 offset:128
	;; [unrolled: 1-line block ×3, first 2 shown]
	s_waitcnt lgkmcnt(0)
	s_barrier
	ds_read_b64 v[6:7], v1
	s_waitcnt lgkmcnt(0)
	buffer_store_dwordx2 v[6:7], v5, s[36:39], 0 offen
	s_waitcnt lgkmcnt(0)
	s_barrier
	scratch_load_dwordx4 v[6:9], off, off offset:2416
	v_or_b32_e32 v5, 32, v4
	v_cmp_gt_i32_e64 s[14:15], s28, v5
	s_and_b64 s[16:17], s[14:15], s[12:13]
	s_waitcnt vmcnt(0)
	v_cvt_f16_f32_e32 v5, v6
	v_cvt_f16_f32_e32 v6, v7
	;; [unrolled: 1-line block ×4, first 2 shown]
	ds_write_b16 v3, v5
	ds_write_b16 v3, v6 offset:64
	ds_write_b16 v3, v7 offset:128
	;; [unrolled: 1-line block ×3, first 2 shown]
	s_waitcnt lgkmcnt(0)
	s_barrier
	ds_read_b64 v[6:7], v1
	v_cndmask_b32_e64 v5, v2, 0, s[16:17]
	v_add_u32_e32 v5, v20, v5
	s_and_b64 s[16:17], s[14:15], s[10:11]
	s_waitcnt lgkmcnt(0)
	buffer_store_dwordx2 v[6:7], v5, s[36:39], 0 offen
	s_waitcnt lgkmcnt(0)
	s_barrier
	scratch_load_dwordx4 v[6:9], off, off offset:2400
	v_mov_b32_e32 v5, 0x7fffffc0
	s_waitcnt vmcnt(0)
	v_cvt_f16_f32_e32 v6, v6
	v_cvt_f16_f32_e32 v7, v7
	;; [unrolled: 1-line block ×4, first 2 shown]
	ds_write_b16 v3, v6
	ds_write_b16 v3, v7 offset:64
	ds_write_b16 v3, v8 offset:128
	;; [unrolled: 1-line block ×3, first 2 shown]
	s_waitcnt lgkmcnt(0)
	s_barrier
	ds_read_b64 v[8:9], v1
	v_not_b32_e32 v7, 63
	v_cndmask_b32_e64 v6, v5, v7, s[16:17]
	v_add_u32_e32 v6, v20, v6
	s_and_b64 s[16:17], s[14:15], s[8:9]
	s_waitcnt lgkmcnt(0)
	buffer_store_dwordx2 v[8:9], v6, s[36:39], 0 offen
	s_waitcnt lgkmcnt(0)
	s_barrier
	scratch_load_dwordx4 v[8:11], off, off offset:2384
	v_mov_b32_e32 v6, 0x7fffff80
	s_waitcnt vmcnt(0)
	v_cvt_f16_f32_e32 v8, v8
	v_cvt_f16_f32_e32 v9, v9
	v_cvt_f16_f32_e32 v10, v10
	v_cvt_f16_f32_e32 v11, v11
	ds_write_b16 v3, v8
	ds_write_b16 v3, v9 offset:64
	ds_write_b16 v3, v10 offset:128
	ds_write_b16 v3, v11 offset:192
	s_waitcnt lgkmcnt(0)
	s_barrier
	ds_read_b64 v[10:11], v1
	v_mov_b32_e32 v9, 0xffffff80
	v_cndmask_b32_e64 v8, v6, v9, s[16:17]
	v_add_u32_e32 v8, v20, v8
	s_and_b64 s[16:17], s[14:15], s[6:7]
	s_waitcnt lgkmcnt(0)
	buffer_store_dwordx2 v[10:11], v8, s[36:39], 0 offen
	s_waitcnt lgkmcnt(0)
	s_barrier
	scratch_load_dwordx4 v[10:13], off, off offset:2368
	v_mov_b32_e32 v8, 0x7fffff40
	s_waitcnt vmcnt(0)
	v_cvt_f16_f32_e32 v10, v10
	v_cvt_f16_f32_e32 v11, v11
	v_cvt_f16_f32_e32 v12, v12
	v_cvt_f16_f32_e32 v13, v13
	ds_write_b16 v3, v10
	ds_write_b16 v3, v11 offset:64
	ds_write_b16 v3, v12 offset:128
	ds_write_b16 v3, v13 offset:192
	s_waitcnt lgkmcnt(0)
	s_barrier
	ds_read_b64 v[12:13], v1
	v_mov_b32_e32 v11, 0xffffff40
	;; [unrolled: 22-line block ×4, first 2 shown]
	v_cndmask_b32_e64 v14, v12, v15, s[16:17]
	v_add_u32_e32 v14, v20, v14
	s_and_b64 s[16:17], s[14:15], s[0:1]
	s_waitcnt lgkmcnt(0)
	buffer_store_dwordx2 v[16:17], v14, s[36:39], 0 offen
	s_waitcnt lgkmcnt(0)
	s_barrier
	scratch_load_dwordx4 v[16:19], off, off offset:2320
	v_mov_b32_e32 v14, 0x7ffffe80
	s_and_b64 s[14:15], vcc, s[14:15]
	s_waitcnt vmcnt(0)
	v_cvt_f16_f32_e32 v16, v16
	v_cvt_f16_f32_e32 v17, v17
	;; [unrolled: 1-line block ×4, first 2 shown]
	ds_write_b16 v3, v16
	ds_write_b16 v3, v17 offset:64
	ds_write_b16 v3, v18 offset:128
	;; [unrolled: 1-line block ×3, first 2 shown]
	s_waitcnt lgkmcnt(0)
	s_barrier
	ds_read_b64 v[18:19], v1
	v_mov_b32_e32 v16, 0xfffffe80
	v_cndmask_b32_e64 v17, v14, v16, s[16:17]
	v_add_u32_e32 v17, v20, v17
	s_waitcnt lgkmcnt(0)
	buffer_store_dwordx2 v[18:19], v17, s[36:39], 0 offen
	s_waitcnt lgkmcnt(0)
	s_barrier
	scratch_load_dwordx4 v[18:21], off, off offset:2304
	s_waitcnt vmcnt(0)
	v_cvt_f16_f32_e32 v17, v18
	v_cvt_f16_f32_e32 v18, v19
	;; [unrolled: 1-line block ×4, first 2 shown]
	ds_write_b16 v3, v17
	ds_write_b16 v3, v18 offset:64
	ds_write_b16 v3, v19 offset:128
	;; [unrolled: 1-line block ×3, first 2 shown]
	s_waitcnt lgkmcnt(0)
	s_barrier
	ds_read_b64 v[18:19], v1
	v_cndmask_b32_e64 v17, v2, 0, s[14:15]
	v_lshl_add_u32 v17, v0, 1, v17
	s_waitcnt lgkmcnt(0)
	buffer_store_dwordx2 v[18:19], v17, s[36:39], 0 offen
	s_waitcnt lgkmcnt(0)
	s_barrier
	scratch_load_dwordx4 v[18:21], off, off offset:2432
	v_or_b32_e32 v17, 64, v4
	v_cmp_gt_i32_e64 s[14:15], s28, v17
	s_and_b64 s[16:17], vcc, s[14:15]
	s_waitcnt vmcnt(0)
	v_cvt_f16_f32_e32 v17, v18
	v_cvt_f16_f32_e32 v18, v19
	;; [unrolled: 1-line block ×4, first 2 shown]
	ds_write_b16 v3, v17
	ds_write_b16 v3, v18 offset:64
	ds_write_b16 v3, v19 offset:128
	ds_write_b16 v3, v20 offset:192
	s_waitcnt lgkmcnt(0)
	s_barrier
	ds_read_b64 v[18:19], v1
	v_cndmask_b32_e64 v17, v2, 0, s[16:17]
	v_add_u32_e32 v0, v30, v17
	s_and_b64 s[16:17], s[14:15], s[0:1]
	s_waitcnt lgkmcnt(0)
	buffer_store_dwordx2 v[18:19], v0, s[36:39], 0 offen
	s_waitcnt lgkmcnt(0)
	s_barrier
	scratch_load_dwordx4 v[18:21], off, off offset:2448
	s_waitcnt vmcnt(0)
	v_cvt_f16_f32_e32 v0, v18
	v_cvt_f16_f32_e32 v17, v19
	v_cvt_f16_f32_e32 v18, v20
	v_cvt_f16_f32_e32 v19, v21
	ds_write_b16 v3, v0
	ds_write_b16 v3, v17 offset:64
	ds_write_b16 v3, v18 offset:128
	ds_write_b16 v3, v19 offset:192
	s_waitcnt lgkmcnt(0)
	s_barrier
	ds_read_b64 v[18:19], v1
	v_mov_b32_e32 v17, 0x80000040
	v_cndmask_b32_e64 v0, v17, 64, s[16:17]
	v_add_u32_e32 v0, v30, v0
	s_and_b64 s[16:17], s[14:15], s[2:3]
	s_waitcnt lgkmcnt(0)
	buffer_store_dwordx2 v[18:19], v0, s[36:39], 0 offen
	s_waitcnt lgkmcnt(0)
	s_barrier
	scratch_load_dwordx4 v[18:21], off, off offset:2464
	v_mov_b32_e32 v0, 0x80000080
	s_waitcnt vmcnt(0)
	v_cvt_f16_f32_e32 v18, v18
	v_cvt_f16_f32_e32 v19, v19
	v_cvt_f16_f32_e32 v20, v20
	v_cvt_f16_f32_e32 v21, v21
	ds_write_b16 v3, v18
	ds_write_b16 v3, v19 offset:64
	ds_write_b16 v3, v20 offset:128
	ds_write_b16 v3, v21 offset:192
	s_waitcnt lgkmcnt(0)
	s_barrier
	ds_read_b64 v[20:21], v1
	v_mov_b32_e32 v19, 0x80
	v_cndmask_b32_e64 v18, v0, v19, s[16:17]
	v_add_u32_e32 v18, v30, v18
	s_and_b64 s[16:17], s[14:15], s[4:5]
	s_waitcnt lgkmcnt(0)
	buffer_store_dwordx2 v[20:21], v18, s[36:39], 0 offen
	s_waitcnt lgkmcnt(0)
	s_barrier
	scratch_load_dwordx4 v[20:23], off, off offset:2480
	v_mov_b32_e32 v18, 0x800000c0
	;; [unrolled: 22-line block ×5, first 2 shown]
	s_and_b64 s[14:15], s[14:15], s[12:13]
	s_waitcnt vmcnt(0)
	v_cvt_f16_f32_e32 v26, v26
	v_cvt_f16_f32_e32 v27, v27
	;; [unrolled: 1-line block ×4, first 2 shown]
	ds_write_b16 v3, v26
	ds_write_b16 v3, v27 offset:64
	ds_write_b16 v3, v28 offset:128
	;; [unrolled: 1-line block ×3, first 2 shown]
	s_waitcnt lgkmcnt(0)
	s_barrier
	ds_read_b64 v[28:29], v1
	v_mov_b32_e32 v26, 0x180
	v_cndmask_b32_e64 v27, v24, v26, s[16:17]
	v_add_u32_e32 v27, v30, v27
	s_waitcnt lgkmcnt(0)
	buffer_store_dwordx2 v[28:29], v27, s[36:39], 0 offen
	s_waitcnt lgkmcnt(0)
	s_barrier
	scratch_load_dwordx4 v[28:31], off, off offset:2544
	s_waitcnt vmcnt(0)
	v_cvt_f16_f32_e32 v27, v28
	v_cvt_f16_f32_e32 v28, v29
	;; [unrolled: 1-line block ×4, first 2 shown]
	ds_write_b16 v3, v27
	ds_write_b16 v3, v28 offset:64
	ds_write_b16 v3, v29 offset:128
	ds_write_b16 v3, v30 offset:192
	s_waitcnt lgkmcnt(0)
	s_barrier
	ds_read_b64 v[28:29], v1
	v_cndmask_b32_e64 v27, v2, 0, s[14:15]
	v_lshl_add_u32 v27, v33, 1, v27
	v_add_lshl_u32 v33, v33, s18, 1
	s_waitcnt lgkmcnt(0)
	buffer_store_dwordx2 v[28:29], v27, s[36:39], 0 offen
	s_waitcnt lgkmcnt(0)
	s_barrier
	scratch_load_dwordx4 v[28:31], off, off offset:2672
	v_or_b32_e32 v27, 0x60, v4
	v_cmp_gt_i32_e64 s[14:15], s28, v27
	s_and_b64 s[16:17], s[14:15], s[12:13]
	s_waitcnt vmcnt(0)
	v_cvt_f16_f32_e32 v27, v28
	v_cvt_f16_f32_e32 v28, v29
	v_cvt_f16_f32_e32 v29, v30
	v_cvt_f16_f32_e32 v30, v31
	ds_write_b16 v3, v27
	ds_write_b16 v3, v28 offset:64
	ds_write_b16 v3, v29 offset:128
	ds_write_b16 v3, v30 offset:192
	s_waitcnt lgkmcnt(0)
	s_barrier
	ds_read_b64 v[28:29], v1
	v_cndmask_b32_e64 v27, v2, 0, s[16:17]
	v_add_u32_e32 v27, v33, v27
	s_and_b64 s[16:17], s[14:15], s[10:11]
	s_waitcnt lgkmcnt(0)
	buffer_store_dwordx2 v[28:29], v27, s[36:39], 0 offen
	s_waitcnt lgkmcnt(0)
	s_barrier
	scratch_load_dwordx4 v[28:31], off, off offset:2656
	s_waitcnt vmcnt(0)
	v_cvt_f16_f32_e32 v27, v28
	v_cvt_f16_f32_e32 v28, v29
	v_cvt_f16_f32_e32 v29, v30
	v_cvt_f16_f32_e32 v30, v31
	ds_write_b16 v3, v27
	ds_write_b16 v3, v28 offset:64
	ds_write_b16 v3, v29 offset:128
	ds_write_b16 v3, v30 offset:192
	s_waitcnt lgkmcnt(0)
	s_barrier
	ds_read_b64 v[28:29], v1
	v_cndmask_b32_e64 v27, v5, v7, s[16:17]
	v_add_u32_e32 v27, v33, v27
	s_and_b64 s[16:17], s[14:15], s[8:9]
	s_waitcnt lgkmcnt(0)
	buffer_store_dwordx2 v[28:29], v27, s[36:39], 0 offen
	s_waitcnt lgkmcnt(0)
	s_barrier
	scratch_load_dwordx4 v[28:31], off, off offset:2640
	;; [unrolled: 20-line block ×5, first 2 shown]
	s_waitcnt vmcnt(0)
	v_cvt_f16_f32_e32 v27, v28
	v_cvt_f16_f32_e32 v28, v29
	;; [unrolled: 1-line block ×4, first 2 shown]
	ds_write_b16 v3, v27
	ds_write_b16 v3, v28 offset:64
	ds_write_b16 v3, v29 offset:128
	;; [unrolled: 1-line block ×3, first 2 shown]
	s_waitcnt lgkmcnt(0)
	s_barrier
	ds_read_b64 v[28:29], v1
	v_cndmask_b32_e64 v27, v12, v15, s[16:17]
	v_add_u32_e32 v27, v33, v27
	s_and_b64 s[16:17], s[14:15], s[0:1]
	s_and_b64 s[14:15], vcc, s[14:15]
	s_waitcnt lgkmcnt(0)
	buffer_store_dwordx2 v[28:29], v27, s[36:39], 0 offen
	s_waitcnt lgkmcnt(0)
	s_barrier
	scratch_load_dwordx4 v[28:31], off, off offset:2576
	s_waitcnt vmcnt(0)
	v_cvt_f16_f32_e32 v27, v28
	v_cvt_f16_f32_e32 v28, v29
	;; [unrolled: 1-line block ×4, first 2 shown]
	ds_write_b16 v3, v27
	ds_write_b16 v3, v28 offset:64
	ds_write_b16 v3, v29 offset:128
	;; [unrolled: 1-line block ×3, first 2 shown]
	s_waitcnt lgkmcnt(0)
	s_barrier
	ds_read_b64 v[28:29], v1
	v_cndmask_b32_e64 v27, v14, v16, s[16:17]
	v_add_u32_e32 v27, v33, v27
	s_waitcnt lgkmcnt(0)
	buffer_store_dwordx2 v[28:29], v27, s[36:39], 0 offen
	s_waitcnt lgkmcnt(0)
	s_barrier
	scratch_load_dwordx4 v[28:31], off, off offset:2560
	s_waitcnt vmcnt(0)
	v_cvt_f16_f32_e32 v27, v28
	v_cvt_f16_f32_e32 v28, v29
	;; [unrolled: 1-line block ×4, first 2 shown]
	ds_write_b16 v3, v27
	ds_write_b16 v3, v28 offset:64
	ds_write_b16 v3, v29 offset:128
	;; [unrolled: 1-line block ×3, first 2 shown]
	s_waitcnt lgkmcnt(0)
	s_barrier
	ds_read_b64 v[28:29], v1
	v_cndmask_b32_e64 v27, v2, 0, s[14:15]
	v_lshl_add_u32 v27, v32, 1, v27
	v_add_u32_e32 v32, s18, v32
	v_lshlrev_b32_e32 v33, 1, v32
	s_waitcnt lgkmcnt(0)
	buffer_store_dwordx2 v[28:29], v27, s[36:39], 0 offen
	s_waitcnt lgkmcnt(0)
	s_barrier
	scratch_load_dwordx4 v[28:31], off, off offset:2688
	v_or_b32_e32 v27, 0x80, v4
	v_cmp_gt_i32_e64 s[14:15], s28, v27
	s_and_b64 s[16:17], vcc, s[14:15]
	s_waitcnt vmcnt(0)
	v_cvt_f16_f32_e32 v27, v28
	v_cvt_f16_f32_e32 v28, v29
	v_cvt_f16_f32_e32 v29, v30
	v_cvt_f16_f32_e32 v30, v31
	ds_write_b16 v3, v27
	ds_write_b16 v3, v28 offset:64
	ds_write_b16 v3, v29 offset:128
	ds_write_b16 v3, v30 offset:192
	s_waitcnt lgkmcnt(0)
	s_barrier
	ds_read_b64 v[28:29], v1
	v_cndmask_b32_e64 v27, v2, 0, s[16:17]
	v_add_u32_e32 v27, v33, v27
	s_and_b64 s[16:17], s[14:15], s[0:1]
	s_waitcnt lgkmcnt(0)
	buffer_store_dwordx2 v[28:29], v27, s[36:39], 0 offen
	s_waitcnt lgkmcnt(0)
	s_barrier
	scratch_load_dwordx4 v[28:31], off, off offset:2704
	s_waitcnt vmcnt(0)
	v_cvt_f16_f32_e32 v27, v28
	v_cvt_f16_f32_e32 v28, v29
	v_cvt_f16_f32_e32 v29, v30
	v_cvt_f16_f32_e32 v30, v31
	ds_write_b16 v3, v27
	ds_write_b16 v3, v28 offset:64
	ds_write_b16 v3, v29 offset:128
	ds_write_b16 v3, v30 offset:192
	s_waitcnt lgkmcnt(0)
	s_barrier
	ds_read_b64 v[28:29], v1
	v_cndmask_b32_e64 v27, v17, 64, s[16:17]
	v_add_u32_e32 v27, v33, v27
	s_and_b64 s[16:17], s[14:15], s[2:3]
	s_waitcnt lgkmcnt(0)
	buffer_store_dwordx2 v[28:29], v27, s[36:39], 0 offen
	s_waitcnt lgkmcnt(0)
	s_barrier
	scratch_load_dwordx4 v[28:31], off, off offset:2720
	;; [unrolled: 20-line block ×5, first 2 shown]
	s_waitcnt vmcnt(0)
	v_cvt_f16_f32_e32 v27, v28
	v_cvt_f16_f32_e32 v28, v29
	;; [unrolled: 1-line block ×4, first 2 shown]
	ds_write_b16 v3, v27
	ds_write_b16 v3, v28 offset:64
	ds_write_b16 v3, v29 offset:128
	;; [unrolled: 1-line block ×3, first 2 shown]
	s_waitcnt lgkmcnt(0)
	s_barrier
	ds_read_b64 v[28:29], v1
	v_cndmask_b32_e64 v27, v22, v25, s[16:17]
	v_add_u32_e32 v27, v33, v27
	s_and_b64 s[16:17], s[14:15], s[10:11]
	s_and_b64 s[14:15], s[14:15], s[12:13]
	s_waitcnt lgkmcnt(0)
	buffer_store_dwordx2 v[28:29], v27, s[36:39], 0 offen
	s_waitcnt lgkmcnt(0)
	s_barrier
	scratch_load_dwordx4 v[28:31], off, off offset:2784
	s_waitcnt vmcnt(0)
	v_cvt_f16_f32_e32 v27, v28
	v_cvt_f16_f32_e32 v28, v29
	;; [unrolled: 1-line block ×4, first 2 shown]
	ds_write_b16 v3, v27
	ds_write_b16 v3, v28 offset:64
	ds_write_b16 v3, v29 offset:128
	;; [unrolled: 1-line block ×3, first 2 shown]
	s_waitcnt lgkmcnt(0)
	s_barrier
	ds_read_b64 v[28:29], v1
	v_cndmask_b32_e64 v27, v24, v26, s[16:17]
	v_add_u32_e32 v27, v33, v27
	v_add_u32_e32 v33, 0xe0, v32
	;; [unrolled: 1-line block ×3, first 2 shown]
	s_waitcnt lgkmcnt(0)
	buffer_store_dwordx2 v[28:29], v27, s[36:39], 0 offen
	s_waitcnt lgkmcnt(0)
	s_barrier
	scratch_load_dwordx4 v[28:31], off, off offset:2800
	s_waitcnt vmcnt(0)
	v_cvt_f16_f32_e32 v27, v28
	v_cvt_f16_f32_e32 v28, v29
	;; [unrolled: 1-line block ×4, first 2 shown]
	ds_write_b16 v3, v27
	ds_write_b16 v3, v28 offset:64
	ds_write_b16 v3, v29 offset:128
	;; [unrolled: 1-line block ×3, first 2 shown]
	s_waitcnt lgkmcnt(0)
	s_barrier
	ds_read_b64 v[28:29], v1
	v_cndmask_b32_e64 v27, v2, 0, s[14:15]
	v_lshl_add_u32 v27, v33, 1, v27
	v_add_lshl_u32 v33, v33, s18, 1
	s_waitcnt lgkmcnt(0)
	buffer_store_dwordx2 v[28:29], v27, s[36:39], 0 offen
	s_waitcnt lgkmcnt(0)
	s_barrier
	scratch_load_dwordx4 v[28:31], off, off offset:2928
	v_or_b32_e32 v27, 0xa0, v4
	v_cmp_gt_i32_e64 s[14:15], s28, v27
	s_and_b64 s[16:17], s[14:15], s[12:13]
	s_waitcnt vmcnt(0)
	v_cvt_f16_f32_e32 v27, v28
	v_cvt_f16_f32_e32 v28, v29
	v_cvt_f16_f32_e32 v29, v30
	v_cvt_f16_f32_e32 v30, v31
	ds_write_b16 v3, v27
	ds_write_b16 v3, v28 offset:64
	ds_write_b16 v3, v29 offset:128
	ds_write_b16 v3, v30 offset:192
	s_waitcnt lgkmcnt(0)
	s_barrier
	ds_read_b64 v[28:29], v1
	v_cndmask_b32_e64 v27, v2, 0, s[16:17]
	v_add_u32_e32 v27, v33, v27
	s_and_b64 s[16:17], s[14:15], s[10:11]
	s_waitcnt lgkmcnt(0)
	buffer_store_dwordx2 v[28:29], v27, s[36:39], 0 offen
	s_waitcnt lgkmcnt(0)
	s_barrier
	scratch_load_dwordx4 v[28:31], off, off offset:2912
	s_waitcnt vmcnt(0)
	v_cvt_f16_f32_e32 v27, v28
	v_cvt_f16_f32_e32 v28, v29
	v_cvt_f16_f32_e32 v29, v30
	v_cvt_f16_f32_e32 v30, v31
	ds_write_b16 v3, v27
	ds_write_b16 v3, v28 offset:64
	ds_write_b16 v3, v29 offset:128
	ds_write_b16 v3, v30 offset:192
	s_waitcnt lgkmcnt(0)
	s_barrier
	ds_read_b64 v[28:29], v1
	v_cndmask_b32_e64 v27, v5, v7, s[16:17]
	v_add_u32_e32 v27, v33, v27
	s_and_b64 s[16:17], s[14:15], s[8:9]
	s_waitcnt lgkmcnt(0)
	buffer_store_dwordx2 v[28:29], v27, s[36:39], 0 offen
	s_waitcnt lgkmcnt(0)
	s_barrier
	scratch_load_dwordx4 v[28:31], off, off offset:2896
	s_waitcnt vmcnt(0)
	v_cvt_f16_f32_e32 v27, v28
	v_cvt_f16_f32_e32 v28, v29
	v_cvt_f16_f32_e32 v29, v30
	v_cvt_f16_f32_e32 v30, v31
	ds_write_b16 v3, v27
	ds_write_b16 v3, v28 offset:64
	ds_write_b16 v3, v29 offset:128
	ds_write_b16 v3, v30 offset:192
	s_waitcnt lgkmcnt(0)
	s_barrier
	ds_read_b64 v[28:29], v1
	v_cndmask_b32_e64 v27, v6, v9, s[16:17]
	v_add_u32_e32 v27, v33, v27
	s_and_b64 s[16:17], s[14:15], s[6:7]
	s_waitcnt lgkmcnt(0)
	buffer_store_dwordx2 v[28:29], v27, s[36:39], 0 offen
	s_waitcnt lgkmcnt(0)
	s_barrier
	scratch_load_dwordx4 v[28:31], off, off offset:2880
	s_waitcnt vmcnt(0)
	v_cvt_f16_f32_e32 v27, v28
	v_cvt_f16_f32_e32 v28, v29
	v_cvt_f16_f32_e32 v29, v30
	v_cvt_f16_f32_e32 v30, v31
	ds_write_b16 v3, v27
	ds_write_b16 v3, v28 offset:64
	ds_write_b16 v3, v29 offset:128
	ds_write_b16 v3, v30 offset:192
	s_waitcnt lgkmcnt(0)
	s_barrier
	ds_read_b64 v[28:29], v1
	v_cndmask_b32_e64 v27, v8, v11, s[16:17]
	v_add_u32_e32 v27, v33, v27
	s_and_b64 s[16:17], s[14:15], s[4:5]
	s_waitcnt lgkmcnt(0)
	buffer_store_dwordx2 v[28:29], v27, s[36:39], 0 offen
	s_waitcnt lgkmcnt(0)
	s_barrier
	scratch_load_dwordx4 v[28:31], off, off offset:2864
	s_waitcnt vmcnt(0)
	v_cvt_f16_f32_e32 v27, v28
	v_cvt_f16_f32_e32 v28, v29
	v_cvt_f16_f32_e32 v29, v30
	v_cvt_f16_f32_e32 v30, v31
	ds_write_b16 v3, v27
	ds_write_b16 v3, v28 offset:64
	ds_write_b16 v3, v29 offset:128
	ds_write_b16 v3, v30 offset:192
	s_waitcnt lgkmcnt(0)
	s_barrier
	ds_read_b64 v[28:29], v1
	v_cndmask_b32_e64 v27, v10, v13, s[16:17]
	v_add_u32_e32 v27, v33, v27
	s_and_b64 s[16:17], s[14:15], s[2:3]
	s_waitcnt lgkmcnt(0)
	buffer_store_dwordx2 v[28:29], v27, s[36:39], 0 offen
	s_waitcnt lgkmcnt(0)
	s_barrier
	scratch_load_dwordx4 v[28:31], off, off offset:2848
	s_waitcnt vmcnt(0)
	v_cvt_f16_f32_e32 v27, v28
	v_cvt_f16_f32_e32 v28, v29
	;; [unrolled: 1-line block ×4, first 2 shown]
	ds_write_b16 v3, v27
	ds_write_b16 v3, v28 offset:64
	ds_write_b16 v3, v29 offset:128
	;; [unrolled: 1-line block ×3, first 2 shown]
	s_waitcnt lgkmcnt(0)
	s_barrier
	ds_read_b64 v[28:29], v1
	v_cndmask_b32_e64 v27, v12, v15, s[16:17]
	v_add_u32_e32 v27, v33, v27
	s_and_b64 s[16:17], s[14:15], s[0:1]
	s_and_b64 s[14:15], vcc, s[14:15]
	s_waitcnt lgkmcnt(0)
	buffer_store_dwordx2 v[28:29], v27, s[36:39], 0 offen
	s_waitcnt lgkmcnt(0)
	s_barrier
	scratch_load_dwordx4 v[28:31], off, off offset:2832
	s_waitcnt vmcnt(0)
	v_cvt_f16_f32_e32 v27, v28
	v_cvt_f16_f32_e32 v28, v29
	;; [unrolled: 1-line block ×4, first 2 shown]
	ds_write_b16 v3, v27
	ds_write_b16 v3, v28 offset:64
	ds_write_b16 v3, v29 offset:128
	;; [unrolled: 1-line block ×3, first 2 shown]
	s_waitcnt lgkmcnt(0)
	s_barrier
	ds_read_b64 v[28:29], v1
	v_cndmask_b32_e64 v27, v14, v16, s[16:17]
	v_add_u32_e32 v27, v33, v27
	s_waitcnt lgkmcnt(0)
	buffer_store_dwordx2 v[28:29], v27, s[36:39], 0 offen
	s_waitcnt lgkmcnt(0)
	s_barrier
	scratch_load_dwordx4 v[28:31], off, off offset:2816
	s_waitcnt vmcnt(0)
	v_cvt_f16_f32_e32 v27, v28
	v_cvt_f16_f32_e32 v28, v29
	;; [unrolled: 1-line block ×4, first 2 shown]
	ds_write_b16 v3, v27
	ds_write_b16 v3, v28 offset:64
	ds_write_b16 v3, v29 offset:128
	;; [unrolled: 1-line block ×3, first 2 shown]
	s_waitcnt lgkmcnt(0)
	s_barrier
	ds_read_b64 v[28:29], v1
	v_cndmask_b32_e64 v27, v2, 0, s[14:15]
	v_lshl_add_u32 v27, v32, 1, v27
	v_add_u32_e32 v32, s18, v32
	v_lshlrev_b32_e32 v33, 1, v32
	s_waitcnt lgkmcnt(0)
	buffer_store_dwordx2 v[28:29], v27, s[36:39], 0 offen
	s_waitcnt lgkmcnt(0)
	s_barrier
	scratch_load_dwordx4 v[28:31], off, off offset:2944
	v_or_b32_e32 v27, 0xc0, v4
	v_cmp_gt_i32_e64 s[14:15], s28, v27
	s_and_b64 s[16:17], vcc, s[14:15]
	s_waitcnt vmcnt(0)
	v_cvt_f16_f32_e32 v27, v28
	v_cvt_f16_f32_e32 v28, v29
	;; [unrolled: 1-line block ×4, first 2 shown]
	ds_write_b16 v3, v27
	ds_write_b16 v3, v28 offset:64
	ds_write_b16 v3, v29 offset:128
	;; [unrolled: 1-line block ×3, first 2 shown]
	s_waitcnt lgkmcnt(0)
	s_barrier
	ds_read_b64 v[28:29], v1
	v_cndmask_b32_e64 v27, v2, 0, s[16:17]
	v_add_u32_e32 v27, v33, v27
	s_and_b64 s[16:17], s[14:15], s[0:1]
	v_cndmask_b32_e64 v17, v17, 64, s[16:17]
	s_waitcnt lgkmcnt(0)
	buffer_store_dwordx2 v[28:29], v27, s[36:39], 0 offen
	s_waitcnt lgkmcnt(0)
	s_barrier
	scratch_load_dwordx4 v[28:31], off, off offset:2960
	v_add_u32_e32 v17, v33, v17
	s_and_b64 s[16:17], s[14:15], s[2:3]
	v_cndmask_b32_e64 v0, v0, v19, s[16:17]
	v_add_u32_e32 v0, v33, v0
	s_and_b64 s[16:17], s[14:15], s[4:5]
	s_waitcnt vmcnt(0)
	v_cvt_f16_f32_e32 v27, v28
	v_cvt_f16_f32_e32 v28, v29
	;; [unrolled: 1-line block ×4, first 2 shown]
	ds_write_b16 v3, v27
	ds_write_b16 v3, v28 offset:64
	ds_write_b16 v3, v29 offset:128
	;; [unrolled: 1-line block ×3, first 2 shown]
	s_waitcnt lgkmcnt(0)
	s_barrier
	ds_read_b64 v[28:29], v1
	s_waitcnt lgkmcnt(0)
	buffer_store_dwordx2 v[28:29], v17, s[36:39], 0 offen
	s_waitcnt lgkmcnt(0)
	s_barrier
	scratch_load_dwordx4 v[28:31], off, off offset:2976
	s_waitcnt vmcnt(0)
	v_cvt_f16_f32_e32 v17, v28
	v_cvt_f16_f32_e32 v27, v29
	;; [unrolled: 1-line block ×4, first 2 shown]
	ds_write_b16 v3, v17
	ds_write_b16 v3, v27 offset:64
	ds_write_b16 v3, v28 offset:128
	ds_write_b16 v3, v29 offset:192
	s_waitcnt lgkmcnt(0)
	s_barrier
	ds_read_b64 v[28:29], v1
	s_waitcnt lgkmcnt(0)
	buffer_store_dwordx2 v[28:29], v0, s[36:39], 0 offen
	s_waitcnt lgkmcnt(0)
	s_barrier
	scratch_load_dwordx4 v[28:31], off, off offset:2992
	s_waitcnt vmcnt(0)
	v_cvt_f16_f32_e32 v0, v28
	v_cvt_f16_f32_e32 v17, v29
	v_cvt_f16_f32_e32 v19, v30
	v_cvt_f16_f32_e32 v27, v31
	ds_write_b16 v3, v0
	ds_write_b16 v3, v17 offset:64
	ds_write_b16 v3, v19 offset:128
	ds_write_b16 v3, v27 offset:192
	s_waitcnt lgkmcnt(0)
	s_barrier
	ds_read_b64 v[28:29], v1
	v_cndmask_b32_e64 v0, v18, v21, s[16:17]
	v_add_u32_e32 v0, v33, v0
	s_and_b64 s[16:17], s[14:15], s[6:7]
	s_waitcnt lgkmcnt(0)
	buffer_store_dwordx2 v[28:29], v0, s[36:39], 0 offen
	s_waitcnt lgkmcnt(0)
	s_barrier
	scratch_load_dwordx4 v[28:31], off, off offset:3008
	s_waitcnt vmcnt(0)
	v_cvt_f16_f32_e32 v0, v28
	v_cvt_f16_f32_e32 v17, v29
	v_cvt_f16_f32_e32 v18, v30
	v_cvt_f16_f32_e32 v19, v31
	ds_write_b16 v3, v0
	ds_write_b16 v3, v17 offset:64
	ds_write_b16 v3, v18 offset:128
	ds_write_b16 v3, v19 offset:192
	s_waitcnt lgkmcnt(0)
	s_barrier
	ds_read_b64 v[18:19], v1
	v_cndmask_b32_e64 v0, v20, v23, s[16:17]
	v_add_u32_e32 v0, v33, v0
	s_and_b64 s[16:17], s[14:15], s[8:9]
	;; [unrolled: 20-line block ×3, first 2 shown]
	s_and_b64 s[14:15], s[14:15], s[12:13]
	s_waitcnt lgkmcnt(0)
	buffer_store_dwordx2 v[18:19], v0, s[36:39], 0 offen
	s_waitcnt lgkmcnt(0)
	s_barrier
	scratch_load_dwordx4 v[18:21], off, off offset:3040
	s_waitcnt vmcnt(0)
	v_cvt_f16_f32_e32 v0, v18
	v_cvt_f16_f32_e32 v17, v19
	v_cvt_f16_f32_e32 v18, v20
	v_cvt_f16_f32_e32 v19, v21
	ds_write_b16 v3, v0
	ds_write_b16 v3, v17 offset:64
	ds_write_b16 v3, v18 offset:128
	ds_write_b16 v3, v19 offset:192
	s_waitcnt lgkmcnt(0)
	s_barrier
	ds_read_b64 v[18:19], v1
	v_cndmask_b32_e64 v0, v24, v26, s[16:17]
	v_add_u32_e32 v0, v33, v0
	s_waitcnt lgkmcnt(0)
	buffer_store_dwordx2 v[18:19], v0, s[36:39], 0 offen
	s_waitcnt lgkmcnt(0)
	s_barrier
	scratch_load_dwordx4 v[18:21], off, off offset:3056
	s_waitcnt vmcnt(0)
	v_cvt_f16_f32_e32 v0, v18
	v_cvt_f16_f32_e32 v17, v19
	;; [unrolled: 1-line block ×4, first 2 shown]
	ds_write_b16 v3, v0
	ds_write_b16 v3, v17 offset:64
	ds_write_b16 v3, v18 offset:128
	ds_write_b16 v3, v19 offset:192
	s_waitcnt lgkmcnt(0)
	s_barrier
	ds_read_b64 v[18:19], v1
	v_cndmask_b32_e64 v0, v2, 0, s[14:15]
	v_add_u32_e32 v17, 0xe0, v32
	v_lshl_add_u32 v0, v17, 1, v0
	v_add_lshl_u32 v17, v17, s18, 1
	s_waitcnt lgkmcnt(0)
	buffer_store_dwordx2 v[18:19], v0, s[36:39], 0 offen
	s_waitcnt lgkmcnt(0)
	s_barrier
	scratch_load_dwordx4 v[18:21], off, off offset:3184
	v_or_b32_e32 v0, 0xe0, v4
	v_cmp_gt_i32_e64 s[14:15], s28, v0
	s_and_b64 s[12:13], s[14:15], s[12:13]
	s_and_b64 s[10:11], s[14:15], s[10:11]
	;; [unrolled: 1-line block ×7, first 2 shown]
	s_waitcnt vmcnt(0)
	v_cvt_f16_f32_e32 v0, v18
	v_cvt_f16_f32_e32 v4, v19
	v_cvt_f16_f32_e32 v18, v20
	v_cvt_f16_f32_e32 v19, v21
	ds_write_b16 v3, v0
	ds_write_b16 v3, v4 offset:64
	ds_write_b16 v3, v18 offset:128
	ds_write_b16 v3, v19 offset:192
	s_waitcnt lgkmcnt(0)
	s_barrier
	ds_read_b64 v[18:19], v1
	v_cndmask_b32_e64 v0, v2, 0, s[12:13]
	v_add_u32_e32 v0, v17, v0
	s_waitcnt lgkmcnt(0)
	buffer_store_dwordx2 v[18:19], v0, s[36:39], 0 offen
	s_waitcnt lgkmcnt(0)
	s_barrier
	scratch_load_dwordx4 v[18:21], off, off offset:3168
	s_waitcnt vmcnt(0)
	v_cvt_f16_f32_e32 v0, v18
	v_cvt_f16_f32_e32 v4, v19
	v_cvt_f16_f32_e32 v18, v20
	v_cvt_f16_f32_e32 v19, v21
	ds_write_b16 v3, v0
	ds_write_b16 v3, v4 offset:64
	ds_write_b16 v3, v18 offset:128
	ds_write_b16 v3, v19 offset:192
	s_waitcnt lgkmcnt(0)
	s_barrier
	ds_read_b64 v[18:19], v1
	v_cndmask_b32_e64 v0, v5, v7, s[10:11]
	v_add_u32_e32 v0, v17, v0
	s_waitcnt lgkmcnt(0)
	buffer_store_dwordx2 v[18:19], v0, s[36:39], 0 offen
	s_waitcnt lgkmcnt(0)
	s_barrier
	scratch_load_dwordx4 v[18:21], off, off offset:3152
	;; [unrolled: 19-line block ×6, first 2 shown]
	s_waitcnt vmcnt(0)
	v_cvt_f16_f32_e32 v0, v4
	v_cvt_f16_f32_e32 v4, v5
	;; [unrolled: 1-line block ×4, first 2 shown]
	ds_write_b16 v3, v0
	ds_write_b16 v3, v4 offset:64
	ds_write_b16 v3, v5 offset:128
	;; [unrolled: 1-line block ×3, first 2 shown]
	s_waitcnt lgkmcnt(0)
	s_barrier
	ds_read_b64 v[4:5], v1
	v_cndmask_b32_e64 v0, v14, v16, s[0:1]
	v_add_u32_e32 v0, v17, v0
	s_and_b64 s[0:1], vcc, s[14:15]
	v_cndmask_b32_e64 v2, v2, 0, s[0:1]
	s_waitcnt lgkmcnt(0)
	buffer_store_dwordx2 v[4:5], v0, s[36:39], 0 offen
	s_waitcnt lgkmcnt(0)
	s_barrier
	scratch_load_dwordx4 v[4:7], off, off offset:3072
	s_waitcnt vmcnt(0)
	v_cvt_f16_f32_e32 v0, v4
	v_cvt_f16_f32_e32 v4, v5
	;; [unrolled: 1-line block ×4, first 2 shown]
	ds_write_b16 v3, v0
	ds_write_b16 v3, v4 offset:64
	ds_write_b16 v3, v5 offset:128
	;; [unrolled: 1-line block ×3, first 2 shown]
	s_waitcnt lgkmcnt(0)
	s_barrier
	ds_read_b64 v[0:1], v1
	v_add_u32_e32 v3, s18, v32
	v_lshl_add_u32 v2, v3, 1, v2
	s_waitcnt lgkmcnt(0)
	buffer_store_dwordx2 v[0:1], v2, s[36:39], 0 offen
	s_endpgm
	.section	.rodata,"a",@progbits
	.p2align	6, 0x0
	.amdhsa_kernel _ZN2ck45kernel_gemm_xdl_cshuffle_v3_b_preshuffle_2ldsINS_41GridwiseGemm_xdl_cshuffle_v3_b_preshuffleINS_13tensor_layout4gemm8RowMajorENS3_11ColumnMajorES4_NS_9f8_fnuz_tENS_7pk_i4_tEfDF16_DF16_NS_16tensor_operation12element_wise11PassThroughESA_SA_LNS8_6device18GemmSpecializationE0ELi256ELi256ELi256ELi128ELi16ELi32ELi16ELi16ELi8ELi8ENS_8SequenceIJLi8ELi32ELi1EEEENSD_IJLi1ELi0ELi2EEEESF_Li2ELi16ELi16ELb0ELi0ENSD_IJLi4ELi64ELi1EEEESF_SF_Li2ELi32ELi32ELb0ELi0ELi1ELi1ENSD_IJLi1ELi32ELi1ELi8EEEELi4ELNS_26BlockGemmPipelineSchedulerE0ELNS_24BlockGemmPipelineVersionE2ES6_S6_Lb0ELb0ELi0EEELb1ELNS_25InMemoryDataOperationEnumE0ELi1ELNS_10TailNumberE0EEEvNT_8ArgumentE
		.amdhsa_group_segment_fixed_size 65536
		.amdhsa_private_segment_fixed_size 3312
		.amdhsa_kernarg_size 112
		.amdhsa_user_sgpr_count 2
		.amdhsa_user_sgpr_dispatch_ptr 0
		.amdhsa_user_sgpr_queue_ptr 0
		.amdhsa_user_sgpr_kernarg_segment_ptr 1
		.amdhsa_user_sgpr_dispatch_id 0
		.amdhsa_user_sgpr_kernarg_preload_length 0
		.amdhsa_user_sgpr_kernarg_preload_offset 0
		.amdhsa_user_sgpr_private_segment_size 0
		.amdhsa_uses_dynamic_stack 0
		.amdhsa_enable_private_segment 1
		.amdhsa_system_sgpr_workgroup_id_x 1
		.amdhsa_system_sgpr_workgroup_id_y 0
		.amdhsa_system_sgpr_workgroup_id_z 1
		.amdhsa_system_sgpr_workgroup_info 0
		.amdhsa_system_vgpr_workitem_id 0
		.amdhsa_next_free_vgpr 306
		.amdhsa_next_free_sgpr 96
		.amdhsa_accum_offset 256
		.amdhsa_reserve_vcc 1
		.amdhsa_float_round_mode_32 0
		.amdhsa_float_round_mode_16_64 0
		.amdhsa_float_denorm_mode_32 3
		.amdhsa_float_denorm_mode_16_64 3
		.amdhsa_dx10_clamp 1
		.amdhsa_ieee_mode 1
		.amdhsa_fp16_overflow 0
		.amdhsa_tg_split 0
		.amdhsa_exception_fp_ieee_invalid_op 0
		.amdhsa_exception_fp_denorm_src 0
		.amdhsa_exception_fp_ieee_div_zero 0
		.amdhsa_exception_fp_ieee_overflow 0
		.amdhsa_exception_fp_ieee_underflow 0
		.amdhsa_exception_fp_ieee_inexact 0
		.amdhsa_exception_int_div_zero 0
	.end_amdhsa_kernel
	.section	.text._ZN2ck45kernel_gemm_xdl_cshuffle_v3_b_preshuffle_2ldsINS_41GridwiseGemm_xdl_cshuffle_v3_b_preshuffleINS_13tensor_layout4gemm8RowMajorENS3_11ColumnMajorES4_NS_9f8_fnuz_tENS_7pk_i4_tEfDF16_DF16_NS_16tensor_operation12element_wise11PassThroughESA_SA_LNS8_6device18GemmSpecializationE0ELi256ELi256ELi256ELi128ELi16ELi32ELi16ELi16ELi8ELi8ENS_8SequenceIJLi8ELi32ELi1EEEENSD_IJLi1ELi0ELi2EEEESF_Li2ELi16ELi16ELb0ELi0ENSD_IJLi4ELi64ELi1EEEESF_SF_Li2ELi32ELi32ELb0ELi0ELi1ELi1ENSD_IJLi1ELi32ELi1ELi8EEEELi4ELNS_26BlockGemmPipelineSchedulerE0ELNS_24BlockGemmPipelineVersionE2ES6_S6_Lb0ELb0ELi0EEELb1ELNS_25InMemoryDataOperationEnumE0ELi1ELNS_10TailNumberE0EEEvNT_8ArgumentE,"axG",@progbits,_ZN2ck45kernel_gemm_xdl_cshuffle_v3_b_preshuffle_2ldsINS_41GridwiseGemm_xdl_cshuffle_v3_b_preshuffleINS_13tensor_layout4gemm8RowMajorENS3_11ColumnMajorES4_NS_9f8_fnuz_tENS_7pk_i4_tEfDF16_DF16_NS_16tensor_operation12element_wise11PassThroughESA_SA_LNS8_6device18GemmSpecializationE0ELi256ELi256ELi256ELi128ELi16ELi32ELi16ELi16ELi8ELi8ENS_8SequenceIJLi8ELi32ELi1EEEENSD_IJLi1ELi0ELi2EEEESF_Li2ELi16ELi16ELb0ELi0ENSD_IJLi4ELi64ELi1EEEESF_SF_Li2ELi32ELi32ELb0ELi0ELi1ELi1ENSD_IJLi1ELi32ELi1ELi8EEEELi4ELNS_26BlockGemmPipelineSchedulerE0ELNS_24BlockGemmPipelineVersionE2ES6_S6_Lb0ELb0ELi0EEELb1ELNS_25InMemoryDataOperationEnumE0ELi1ELNS_10TailNumberE0EEEvNT_8ArgumentE,comdat
.Lfunc_end5:
	.size	_ZN2ck45kernel_gemm_xdl_cshuffle_v3_b_preshuffle_2ldsINS_41GridwiseGemm_xdl_cshuffle_v3_b_preshuffleINS_13tensor_layout4gemm8RowMajorENS3_11ColumnMajorES4_NS_9f8_fnuz_tENS_7pk_i4_tEfDF16_DF16_NS_16tensor_operation12element_wise11PassThroughESA_SA_LNS8_6device18GemmSpecializationE0ELi256ELi256ELi256ELi128ELi16ELi32ELi16ELi16ELi8ELi8ENS_8SequenceIJLi8ELi32ELi1EEEENSD_IJLi1ELi0ELi2EEEESF_Li2ELi16ELi16ELb0ELi0ENSD_IJLi4ELi64ELi1EEEESF_SF_Li2ELi32ELi32ELb0ELi0ELi1ELi1ENSD_IJLi1ELi32ELi1ELi8EEEELi4ELNS_26BlockGemmPipelineSchedulerE0ELNS_24BlockGemmPipelineVersionE2ES6_S6_Lb0ELb0ELi0EEELb1ELNS_25InMemoryDataOperationEnumE0ELi1ELNS_10TailNumberE0EEEvNT_8ArgumentE, .Lfunc_end5-_ZN2ck45kernel_gemm_xdl_cshuffle_v3_b_preshuffle_2ldsINS_41GridwiseGemm_xdl_cshuffle_v3_b_preshuffleINS_13tensor_layout4gemm8RowMajorENS3_11ColumnMajorES4_NS_9f8_fnuz_tENS_7pk_i4_tEfDF16_DF16_NS_16tensor_operation12element_wise11PassThroughESA_SA_LNS8_6device18GemmSpecializationE0ELi256ELi256ELi256ELi128ELi16ELi32ELi16ELi16ELi8ELi8ENS_8SequenceIJLi8ELi32ELi1EEEENSD_IJLi1ELi0ELi2EEEESF_Li2ELi16ELi16ELb0ELi0ENSD_IJLi4ELi64ELi1EEEESF_SF_Li2ELi32ELi32ELb0ELi0ELi1ELi1ENSD_IJLi1ELi32ELi1ELi8EEEELi4ELNS_26BlockGemmPipelineSchedulerE0ELNS_24BlockGemmPipelineVersionE2ES6_S6_Lb0ELb0ELi0EEELb1ELNS_25InMemoryDataOperationEnumE0ELi1ELNS_10TailNumberE0EEEvNT_8ArgumentE
                                        ; -- End function
	.set _ZN2ck45kernel_gemm_xdl_cshuffle_v3_b_preshuffle_2ldsINS_41GridwiseGemm_xdl_cshuffle_v3_b_preshuffleINS_13tensor_layout4gemm8RowMajorENS3_11ColumnMajorES4_NS_9f8_fnuz_tENS_7pk_i4_tEfDF16_DF16_NS_16tensor_operation12element_wise11PassThroughESA_SA_LNS8_6device18GemmSpecializationE0ELi256ELi256ELi256ELi128ELi16ELi32ELi16ELi16ELi8ELi8ENS_8SequenceIJLi8ELi32ELi1EEEENSD_IJLi1ELi0ELi2EEEESF_Li2ELi16ELi16ELb0ELi0ENSD_IJLi4ELi64ELi1EEEESF_SF_Li2ELi32ELi32ELb0ELi0ELi1ELi1ENSD_IJLi1ELi32ELi1ELi8EEEELi4ELNS_26BlockGemmPipelineSchedulerE0ELNS_24BlockGemmPipelineVersionE2ES6_S6_Lb0ELb0ELi0EEELb1ELNS_25InMemoryDataOperationEnumE0ELi1ELNS_10TailNumberE0EEEvNT_8ArgumentE.num_vgpr, max(34, .L_ZNK2ck52BlockwiseGemmXdlops_pipeline_bpreshuffle_bdequant_v3ILNS_26BlockGemmPipelineSchedulerE0ELi256ENS_9f8_fnuz_tENS_7pk_i4_tES2_fNS_16TensorDescriptorINS_5TupleIJNS_5EmbedINS5_IJNS_17integral_constantIiLi8EEENS7_IiLi256EEENS7_IiLi16EEEEEENS5_IJSA_NS7_IiLi128EEENS7_IiLi1EEEEEELb0EEENS_3XorINS5_IJS9_S8_EEELb1EEENS_11PassThroughISA_EENS_7UnMergeINS5_IJS8_SD_EEELb0EEENSJ_IS9_EESK_NSJ_IS8_EENS_21Merge_v3_division_modINS5_IJS9_SD_EEEEESK_EEENS5_IJNS_8SequenceIJLi0EEEENSU_IJLi2ELi1EEEENSU_IJLi3EEEENSU_IJLi5EEEENSU_IJLi4EEEENSU_IJLi6EEEENSU_IJLi7EEEENSU_IJLi9ELi8EEEENSU_IJLi10EEEEEEENS5_IJNSU_IJLi1ELi2ELi3EEEENSU_IJLi4ELi5EEEES10_NSU_IJLi7ELi8EEEENSU_IJLi9EEEES13_NSU_IJLi11EEEENSU_IJLi12EEEENSU_IJLi13EEEEEEENSU_IJLi11ELi12ELi13EEEENS7_IlLl32768EEEEENS4_INS5_IJNSL_INS5_IJS8_SD_SD_NS7_IiLi32EEEEEELb0EEEEEENS5_IJSV_EEENS5_IJNSU_IJLi1ELi2ELi3ELi4EEEEEEES1L_NS7_IlLl256EEEEENS4_INS5_IJSF_SI_SK_SN_SO_SK_SP_SS_SK_NSQ_INS5_IJS8_SA_EEEEENSL_INS5_IJS8_NS7_IiLi2EEESA_EEELb0EEEEEENS5_IJSV_SW_SX_SY_SZ_S10_S11_S12_S13_NSU_IJLi11ELi13EEEES1A_EEENS5_IJS15_S16_S10_S17_S18_S13_S19_S1A_S1B_NSU_IJLi14EEEENSU_IJLi15ELi16ELi17EEEEEEENSU_IJLi15ELi16ELi17ELi14EEEES1E_EENS4_INS5_IJS1I_NSQ_ISM_EES1T_EEENS5_IJSV_NSU_IJLi1ELi3EEEENSU_IJLi2EEEEEEENS5_IJS1L_SY_NSU_IJLi6ELi7ELi8EEEEEEENSU_IJLi6ELi7ELi8ELi5EEEES1N_EELi16ELi32ELi256ELi256ELi128ELi16ELi16ELi8ELi8ELi32ELb0EE3RunILb1ELNS_10TailNumberE0ENS4_INS5_IJNS6_INS5_IJiiEEENS5_IJiSD_EEELb0EEENSL_IS2E_Lb0EEENSJ_IiEEEEENS5_IJSV_S25_NSU_IJLi1EEEEEEENS5_IJNSU_IJLi1ELi2EEEENSU_IJLi3ELi4EEEESY_EEENSU_IJLi3ELi5ELi4EEEElEES1F_NS_35ThreadGroupTensorSliceTransfer_v4r1INS_15ThisThreadBlockILi256EEENS_16tensor_operation12element_wise11PassThroughES2W_LNS_25InMemoryDataOperationEnumE0ENSU_IJLi8ELi256ELi16EEEENSU_IJLi8ELi32ELi1EEEENSU_IJLi1ELi0ELi2EEEES2_S2_RKS2Q_KS1F_S30_NSU_IJLi0ELi1ELi2EEEELi2ELi2ELi16ELi16ELi1ELi1ELb0ELb1ELi2EiEENS_13DynamicBufferILNS_16AddressSpaceEnumE1EKS2_lLb1ELNS_22AmdBufferCoherenceEnumE0EiEENS5_IJNS36_ILS37_2ES2_S1E_Lb1ELS39_0EiEES3B_EEENS5_IJiiiEEENS4_INS5_IJNS6_INS5_IJiiiiEEENS5_IJiiiSD_EEELb0EEEEEES1K_S1M_S1L_lEENS_32ThreadwiseTensorSliceTransfer_v2IS3_S3_RKS3I_KS1O_NSU_IJLi8ELi1ELi1ELi32EEEENSU_IJLi1ELi2ELi0ELi3EEEELi3ELi32ELi0ELb1ELb0ELb0EEENS36_ILS37_1EKS3_lLb1ELS39_0EiEENS5_IJNS_12StaticBufferILS37_4ES3_Li256ELb1EEES3T_EEES3E_NS_25StaticBufferTupleOfVectorILS37_4EfLi64ELi4ELb1ELb0EEEEEvRKT1_RKT2_RT3_RKT4_RT5_RKT6_RKT7_RT8_RKT9_RT10_RKT11_RT12_i.num_vgpr)
	.set _ZN2ck45kernel_gemm_xdl_cshuffle_v3_b_preshuffle_2ldsINS_41GridwiseGemm_xdl_cshuffle_v3_b_preshuffleINS_13tensor_layout4gemm8RowMajorENS3_11ColumnMajorES4_NS_9f8_fnuz_tENS_7pk_i4_tEfDF16_DF16_NS_16tensor_operation12element_wise11PassThroughESA_SA_LNS8_6device18GemmSpecializationE0ELi256ELi256ELi256ELi128ELi16ELi32ELi16ELi16ELi8ELi8ENS_8SequenceIJLi8ELi32ELi1EEEENSD_IJLi1ELi0ELi2EEEESF_Li2ELi16ELi16ELb0ELi0ENSD_IJLi4ELi64ELi1EEEESF_SF_Li2ELi32ELi32ELb0ELi0ELi1ELi1ENSD_IJLi1ELi32ELi1ELi8EEEELi4ELNS_26BlockGemmPipelineSchedulerE0ELNS_24BlockGemmPipelineVersionE2ES6_S6_Lb0ELb0ELi0EEELb1ELNS_25InMemoryDataOperationEnumE0ELi1ELNS_10TailNumberE0EEEvNT_8ArgumentE.num_agpr, max(50, .L_ZNK2ck52BlockwiseGemmXdlops_pipeline_bpreshuffle_bdequant_v3ILNS_26BlockGemmPipelineSchedulerE0ELi256ENS_9f8_fnuz_tENS_7pk_i4_tES2_fNS_16TensorDescriptorINS_5TupleIJNS_5EmbedINS5_IJNS_17integral_constantIiLi8EEENS7_IiLi256EEENS7_IiLi16EEEEEENS5_IJSA_NS7_IiLi128EEENS7_IiLi1EEEEEELb0EEENS_3XorINS5_IJS9_S8_EEELb1EEENS_11PassThroughISA_EENS_7UnMergeINS5_IJS8_SD_EEELb0EEENSJ_IS9_EESK_NSJ_IS8_EENS_21Merge_v3_division_modINS5_IJS9_SD_EEEEESK_EEENS5_IJNS_8SequenceIJLi0EEEENSU_IJLi2ELi1EEEENSU_IJLi3EEEENSU_IJLi5EEEENSU_IJLi4EEEENSU_IJLi6EEEENSU_IJLi7EEEENSU_IJLi9ELi8EEEENSU_IJLi10EEEEEEENS5_IJNSU_IJLi1ELi2ELi3EEEENSU_IJLi4ELi5EEEES10_NSU_IJLi7ELi8EEEENSU_IJLi9EEEES13_NSU_IJLi11EEEENSU_IJLi12EEEENSU_IJLi13EEEEEEENSU_IJLi11ELi12ELi13EEEENS7_IlLl32768EEEEENS4_INS5_IJNSL_INS5_IJS8_SD_SD_NS7_IiLi32EEEEEELb0EEEEEENS5_IJSV_EEENS5_IJNSU_IJLi1ELi2ELi3ELi4EEEEEEES1L_NS7_IlLl256EEEEENS4_INS5_IJSF_SI_SK_SN_SO_SK_SP_SS_SK_NSQ_INS5_IJS8_SA_EEEEENSL_INS5_IJS8_NS7_IiLi2EEESA_EEELb0EEEEEENS5_IJSV_SW_SX_SY_SZ_S10_S11_S12_S13_NSU_IJLi11ELi13EEEES1A_EEENS5_IJS15_S16_S10_S17_S18_S13_S19_S1A_S1B_NSU_IJLi14EEEENSU_IJLi15ELi16ELi17EEEEEEENSU_IJLi15ELi16ELi17ELi14EEEES1E_EENS4_INS5_IJS1I_NSQ_ISM_EES1T_EEENS5_IJSV_NSU_IJLi1ELi3EEEENSU_IJLi2EEEEEEENS5_IJS1L_SY_NSU_IJLi6ELi7ELi8EEEEEEENSU_IJLi6ELi7ELi8ELi5EEEES1N_EELi16ELi32ELi256ELi256ELi128ELi16ELi16ELi8ELi8ELi32ELb0EE3RunILb1ELNS_10TailNumberE0ENS4_INS5_IJNS6_INS5_IJiiEEENS5_IJiSD_EEELb0EEENSL_IS2E_Lb0EEENSJ_IiEEEEENS5_IJSV_S25_NSU_IJLi1EEEEEEENS5_IJNSU_IJLi1ELi2EEEENSU_IJLi3ELi4EEEESY_EEENSU_IJLi3ELi5ELi4EEEElEES1F_NS_35ThreadGroupTensorSliceTransfer_v4r1INS_15ThisThreadBlockILi256EEENS_16tensor_operation12element_wise11PassThroughES2W_LNS_25InMemoryDataOperationEnumE0ENSU_IJLi8ELi256ELi16EEEENSU_IJLi8ELi32ELi1EEEENSU_IJLi1ELi0ELi2EEEES2_S2_RKS2Q_KS1F_S30_NSU_IJLi0ELi1ELi2EEEELi2ELi2ELi16ELi16ELi1ELi1ELb0ELb1ELi2EiEENS_13DynamicBufferILNS_16AddressSpaceEnumE1EKS2_lLb1ELNS_22AmdBufferCoherenceEnumE0EiEENS5_IJNS36_ILS37_2ES2_S1E_Lb1ELS39_0EiEES3B_EEENS5_IJiiiEEENS4_INS5_IJNS6_INS5_IJiiiiEEENS5_IJiiiSD_EEELb0EEEEEES1K_S1M_S1L_lEENS_32ThreadwiseTensorSliceTransfer_v2IS3_S3_RKS3I_KS1O_NSU_IJLi8ELi1ELi1ELi32EEEENSU_IJLi1ELi2ELi0ELi3EEEELi3ELi32ELi0ELb1ELb0ELb0EEENS36_ILS37_1EKS3_lLb1ELS39_0EiEENS5_IJNS_12StaticBufferILS37_4ES3_Li256ELb1EEES3T_EEES3E_NS_25StaticBufferTupleOfVectorILS37_4EfLi64ELi4ELb1ELb0EEEEEvRKT1_RKT2_RT3_RKT4_RT5_RKT6_RKT7_RT8_RKT9_RT10_RKT11_RT12_i.num_agpr)
	.set _ZN2ck45kernel_gemm_xdl_cshuffle_v3_b_preshuffle_2ldsINS_41GridwiseGemm_xdl_cshuffle_v3_b_preshuffleINS_13tensor_layout4gemm8RowMajorENS3_11ColumnMajorES4_NS_9f8_fnuz_tENS_7pk_i4_tEfDF16_DF16_NS_16tensor_operation12element_wise11PassThroughESA_SA_LNS8_6device18GemmSpecializationE0ELi256ELi256ELi256ELi128ELi16ELi32ELi16ELi16ELi8ELi8ENS_8SequenceIJLi8ELi32ELi1EEEENSD_IJLi1ELi0ELi2EEEESF_Li2ELi16ELi16ELb0ELi0ENSD_IJLi4ELi64ELi1EEEESF_SF_Li2ELi32ELi32ELb0ELi0ELi1ELi1ENSD_IJLi1ELi32ELi1ELi8EEEELi4ELNS_26BlockGemmPipelineSchedulerE0ELNS_24BlockGemmPipelineVersionE2ES6_S6_Lb0ELb0ELi0EEELb1ELNS_25InMemoryDataOperationEnumE0ELi1ELNS_10TailNumberE0EEEvNT_8ArgumentE.numbered_sgpr, max(40, .L_ZNK2ck52BlockwiseGemmXdlops_pipeline_bpreshuffle_bdequant_v3ILNS_26BlockGemmPipelineSchedulerE0ELi256ENS_9f8_fnuz_tENS_7pk_i4_tES2_fNS_16TensorDescriptorINS_5TupleIJNS_5EmbedINS5_IJNS_17integral_constantIiLi8EEENS7_IiLi256EEENS7_IiLi16EEEEEENS5_IJSA_NS7_IiLi128EEENS7_IiLi1EEEEEELb0EEENS_3XorINS5_IJS9_S8_EEELb1EEENS_11PassThroughISA_EENS_7UnMergeINS5_IJS8_SD_EEELb0EEENSJ_IS9_EESK_NSJ_IS8_EENS_21Merge_v3_division_modINS5_IJS9_SD_EEEEESK_EEENS5_IJNS_8SequenceIJLi0EEEENSU_IJLi2ELi1EEEENSU_IJLi3EEEENSU_IJLi5EEEENSU_IJLi4EEEENSU_IJLi6EEEENSU_IJLi7EEEENSU_IJLi9ELi8EEEENSU_IJLi10EEEEEEENS5_IJNSU_IJLi1ELi2ELi3EEEENSU_IJLi4ELi5EEEES10_NSU_IJLi7ELi8EEEENSU_IJLi9EEEES13_NSU_IJLi11EEEENSU_IJLi12EEEENSU_IJLi13EEEEEEENSU_IJLi11ELi12ELi13EEEENS7_IlLl32768EEEEENS4_INS5_IJNSL_INS5_IJS8_SD_SD_NS7_IiLi32EEEEEELb0EEEEEENS5_IJSV_EEENS5_IJNSU_IJLi1ELi2ELi3ELi4EEEEEEES1L_NS7_IlLl256EEEEENS4_INS5_IJSF_SI_SK_SN_SO_SK_SP_SS_SK_NSQ_INS5_IJS8_SA_EEEEENSL_INS5_IJS8_NS7_IiLi2EEESA_EEELb0EEEEEENS5_IJSV_SW_SX_SY_SZ_S10_S11_S12_S13_NSU_IJLi11ELi13EEEES1A_EEENS5_IJS15_S16_S10_S17_S18_S13_S19_S1A_S1B_NSU_IJLi14EEEENSU_IJLi15ELi16ELi17EEEEEEENSU_IJLi15ELi16ELi17ELi14EEEES1E_EENS4_INS5_IJS1I_NSQ_ISM_EES1T_EEENS5_IJSV_NSU_IJLi1ELi3EEEENSU_IJLi2EEEEEEENS5_IJS1L_SY_NSU_IJLi6ELi7ELi8EEEEEEENSU_IJLi6ELi7ELi8ELi5EEEES1N_EELi16ELi32ELi256ELi256ELi128ELi16ELi16ELi8ELi8ELi32ELb0EE3RunILb1ELNS_10TailNumberE0ENS4_INS5_IJNS6_INS5_IJiiEEENS5_IJiSD_EEELb0EEENSL_IS2E_Lb0EEENSJ_IiEEEEENS5_IJSV_S25_NSU_IJLi1EEEEEEENS5_IJNSU_IJLi1ELi2EEEENSU_IJLi3ELi4EEEESY_EEENSU_IJLi3ELi5ELi4EEEElEES1F_NS_35ThreadGroupTensorSliceTransfer_v4r1INS_15ThisThreadBlockILi256EEENS_16tensor_operation12element_wise11PassThroughES2W_LNS_25InMemoryDataOperationEnumE0ENSU_IJLi8ELi256ELi16EEEENSU_IJLi8ELi32ELi1EEEENSU_IJLi1ELi0ELi2EEEES2_S2_RKS2Q_KS1F_S30_NSU_IJLi0ELi1ELi2EEEELi2ELi2ELi16ELi16ELi1ELi1ELb0ELb1ELi2EiEENS_13DynamicBufferILNS_16AddressSpaceEnumE1EKS2_lLb1ELNS_22AmdBufferCoherenceEnumE0EiEENS5_IJNS36_ILS37_2ES2_S1E_Lb1ELS39_0EiEES3B_EEENS5_IJiiiEEENS4_INS5_IJNS6_INS5_IJiiiiEEENS5_IJiiiSD_EEELb0EEEEEES1K_S1M_S1L_lEENS_32ThreadwiseTensorSliceTransfer_v2IS3_S3_RKS3I_KS1O_NSU_IJLi8ELi1ELi1ELi32EEEENSU_IJLi1ELi2ELi0ELi3EEEELi3ELi32ELi0ELb1ELb0ELb0EEENS36_ILS37_1EKS3_lLb1ELS39_0EiEENS5_IJNS_12StaticBufferILS37_4ES3_Li256ELb1EEES3T_EEES3E_NS_25StaticBufferTupleOfVectorILS37_4EfLi64ELi4ELb1ELb0EEEEEvRKT1_RKT2_RT3_RKT4_RT5_RKT6_RKT7_RT8_RKT9_RT10_RKT11_RT12_i.numbered_sgpr)
	.set _ZN2ck45kernel_gemm_xdl_cshuffle_v3_b_preshuffle_2ldsINS_41GridwiseGemm_xdl_cshuffle_v3_b_preshuffleINS_13tensor_layout4gemm8RowMajorENS3_11ColumnMajorES4_NS_9f8_fnuz_tENS_7pk_i4_tEfDF16_DF16_NS_16tensor_operation12element_wise11PassThroughESA_SA_LNS8_6device18GemmSpecializationE0ELi256ELi256ELi256ELi128ELi16ELi32ELi16ELi16ELi8ELi8ENS_8SequenceIJLi8ELi32ELi1EEEENSD_IJLi1ELi0ELi2EEEESF_Li2ELi16ELi16ELb0ELi0ENSD_IJLi4ELi64ELi1EEEESF_SF_Li2ELi32ELi32ELb0ELi0ELi1ELi1ENSD_IJLi1ELi32ELi1ELi8EEEELi4ELNS_26BlockGemmPipelineSchedulerE0ELNS_24BlockGemmPipelineVersionE2ES6_S6_Lb0ELb0ELi0EEELb1ELNS_25InMemoryDataOperationEnumE0ELi1ELNS_10TailNumberE0EEEvNT_8ArgumentE.num_named_barrier, max(0, .L_ZNK2ck52BlockwiseGemmXdlops_pipeline_bpreshuffle_bdequant_v3ILNS_26BlockGemmPipelineSchedulerE0ELi256ENS_9f8_fnuz_tENS_7pk_i4_tES2_fNS_16TensorDescriptorINS_5TupleIJNS_5EmbedINS5_IJNS_17integral_constantIiLi8EEENS7_IiLi256EEENS7_IiLi16EEEEEENS5_IJSA_NS7_IiLi128EEENS7_IiLi1EEEEEELb0EEENS_3XorINS5_IJS9_S8_EEELb1EEENS_11PassThroughISA_EENS_7UnMergeINS5_IJS8_SD_EEELb0EEENSJ_IS9_EESK_NSJ_IS8_EENS_21Merge_v3_division_modINS5_IJS9_SD_EEEEESK_EEENS5_IJNS_8SequenceIJLi0EEEENSU_IJLi2ELi1EEEENSU_IJLi3EEEENSU_IJLi5EEEENSU_IJLi4EEEENSU_IJLi6EEEENSU_IJLi7EEEENSU_IJLi9ELi8EEEENSU_IJLi10EEEEEEENS5_IJNSU_IJLi1ELi2ELi3EEEENSU_IJLi4ELi5EEEES10_NSU_IJLi7ELi8EEEENSU_IJLi9EEEES13_NSU_IJLi11EEEENSU_IJLi12EEEENSU_IJLi13EEEEEEENSU_IJLi11ELi12ELi13EEEENS7_IlLl32768EEEEENS4_INS5_IJNSL_INS5_IJS8_SD_SD_NS7_IiLi32EEEEEELb0EEEEEENS5_IJSV_EEENS5_IJNSU_IJLi1ELi2ELi3ELi4EEEEEEES1L_NS7_IlLl256EEEEENS4_INS5_IJSF_SI_SK_SN_SO_SK_SP_SS_SK_NSQ_INS5_IJS8_SA_EEEEENSL_INS5_IJS8_NS7_IiLi2EEESA_EEELb0EEEEEENS5_IJSV_SW_SX_SY_SZ_S10_S11_S12_S13_NSU_IJLi11ELi13EEEES1A_EEENS5_IJS15_S16_S10_S17_S18_S13_S19_S1A_S1B_NSU_IJLi14EEEENSU_IJLi15ELi16ELi17EEEEEEENSU_IJLi15ELi16ELi17ELi14EEEES1E_EENS4_INS5_IJS1I_NSQ_ISM_EES1T_EEENS5_IJSV_NSU_IJLi1ELi3EEEENSU_IJLi2EEEEEEENS5_IJS1L_SY_NSU_IJLi6ELi7ELi8EEEEEEENSU_IJLi6ELi7ELi8ELi5EEEES1N_EELi16ELi32ELi256ELi256ELi128ELi16ELi16ELi8ELi8ELi32ELb0EE3RunILb1ELNS_10TailNumberE0ENS4_INS5_IJNS6_INS5_IJiiEEENS5_IJiSD_EEELb0EEENSL_IS2E_Lb0EEENSJ_IiEEEEENS5_IJSV_S25_NSU_IJLi1EEEEEEENS5_IJNSU_IJLi1ELi2EEEENSU_IJLi3ELi4EEEESY_EEENSU_IJLi3ELi5ELi4EEEElEES1F_NS_35ThreadGroupTensorSliceTransfer_v4r1INS_15ThisThreadBlockILi256EEENS_16tensor_operation12element_wise11PassThroughES2W_LNS_25InMemoryDataOperationEnumE0ENSU_IJLi8ELi256ELi16EEEENSU_IJLi8ELi32ELi1EEEENSU_IJLi1ELi0ELi2EEEES2_S2_RKS2Q_KS1F_S30_NSU_IJLi0ELi1ELi2EEEELi2ELi2ELi16ELi16ELi1ELi1ELb0ELb1ELi2EiEENS_13DynamicBufferILNS_16AddressSpaceEnumE1EKS2_lLb1ELNS_22AmdBufferCoherenceEnumE0EiEENS5_IJNS36_ILS37_2ES2_S1E_Lb1ELS39_0EiEES3B_EEENS5_IJiiiEEENS4_INS5_IJNS6_INS5_IJiiiiEEENS5_IJiiiSD_EEELb0EEEEEES1K_S1M_S1L_lEENS_32ThreadwiseTensorSliceTransfer_v2IS3_S3_RKS3I_KS1O_NSU_IJLi8ELi1ELi1ELi32EEEENSU_IJLi1ELi2ELi0ELi3EEEELi3ELi32ELi0ELb1ELb0ELb0EEENS36_ILS37_1EKS3_lLb1ELS39_0EiEENS5_IJNS_12StaticBufferILS37_4ES3_Li256ELb1EEES3T_EEES3E_NS_25StaticBufferTupleOfVectorILS37_4EfLi64ELi4ELb1ELb0EEEEEvRKT1_RKT2_RT3_RKT4_RT5_RKT6_RKT7_RT8_RKT9_RT10_RKT11_RT12_i.num_named_barrier)
	.set _ZN2ck45kernel_gemm_xdl_cshuffle_v3_b_preshuffle_2ldsINS_41GridwiseGemm_xdl_cshuffle_v3_b_preshuffleINS_13tensor_layout4gemm8RowMajorENS3_11ColumnMajorES4_NS_9f8_fnuz_tENS_7pk_i4_tEfDF16_DF16_NS_16tensor_operation12element_wise11PassThroughESA_SA_LNS8_6device18GemmSpecializationE0ELi256ELi256ELi256ELi128ELi16ELi32ELi16ELi16ELi8ELi8ENS_8SequenceIJLi8ELi32ELi1EEEENSD_IJLi1ELi0ELi2EEEESF_Li2ELi16ELi16ELb0ELi0ENSD_IJLi4ELi64ELi1EEEESF_SF_Li2ELi32ELi32ELb0ELi0ELi1ELi1ENSD_IJLi1ELi32ELi1ELi8EEEELi4ELNS_26BlockGemmPipelineSchedulerE0ELNS_24BlockGemmPipelineVersionE2ES6_S6_Lb0ELb0ELi0EEELb1ELNS_25InMemoryDataOperationEnumE0ELi1ELNS_10TailNumberE0EEEvNT_8ArgumentE.private_seg_size, 3312+max(.L_ZNK2ck52BlockwiseGemmXdlops_pipeline_bpreshuffle_bdequant_v3ILNS_26BlockGemmPipelineSchedulerE0ELi256ENS_9f8_fnuz_tENS_7pk_i4_tES2_fNS_16TensorDescriptorINS_5TupleIJNS_5EmbedINS5_IJNS_17integral_constantIiLi8EEENS7_IiLi256EEENS7_IiLi16EEEEEENS5_IJSA_NS7_IiLi128EEENS7_IiLi1EEEEEELb0EEENS_3XorINS5_IJS9_S8_EEELb1EEENS_11PassThroughISA_EENS_7UnMergeINS5_IJS8_SD_EEELb0EEENSJ_IS9_EESK_NSJ_IS8_EENS_21Merge_v3_division_modINS5_IJS9_SD_EEEEESK_EEENS5_IJNS_8SequenceIJLi0EEEENSU_IJLi2ELi1EEEENSU_IJLi3EEEENSU_IJLi5EEEENSU_IJLi4EEEENSU_IJLi6EEEENSU_IJLi7EEEENSU_IJLi9ELi8EEEENSU_IJLi10EEEEEEENS5_IJNSU_IJLi1ELi2ELi3EEEENSU_IJLi4ELi5EEEES10_NSU_IJLi7ELi8EEEENSU_IJLi9EEEES13_NSU_IJLi11EEEENSU_IJLi12EEEENSU_IJLi13EEEEEEENSU_IJLi11ELi12ELi13EEEENS7_IlLl32768EEEEENS4_INS5_IJNSL_INS5_IJS8_SD_SD_NS7_IiLi32EEEEEELb0EEEEEENS5_IJSV_EEENS5_IJNSU_IJLi1ELi2ELi3ELi4EEEEEEES1L_NS7_IlLl256EEEEENS4_INS5_IJSF_SI_SK_SN_SO_SK_SP_SS_SK_NSQ_INS5_IJS8_SA_EEEEENSL_INS5_IJS8_NS7_IiLi2EEESA_EEELb0EEEEEENS5_IJSV_SW_SX_SY_SZ_S10_S11_S12_S13_NSU_IJLi11ELi13EEEES1A_EEENS5_IJS15_S16_S10_S17_S18_S13_S19_S1A_S1B_NSU_IJLi14EEEENSU_IJLi15ELi16ELi17EEEEEEENSU_IJLi15ELi16ELi17ELi14EEEES1E_EENS4_INS5_IJS1I_NSQ_ISM_EES1T_EEENS5_IJSV_NSU_IJLi1ELi3EEEENSU_IJLi2EEEEEEENS5_IJS1L_SY_NSU_IJLi6ELi7ELi8EEEEEEENSU_IJLi6ELi7ELi8ELi5EEEES1N_EELi16ELi32ELi256ELi256ELi128ELi16ELi16ELi8ELi8ELi32ELb0EE3RunILb1ELNS_10TailNumberE0ENS4_INS5_IJNS6_INS5_IJiiEEENS5_IJiSD_EEELb0EEENSL_IS2E_Lb0EEENSJ_IiEEEEENS5_IJSV_S25_NSU_IJLi1EEEEEEENS5_IJNSU_IJLi1ELi2EEEENSU_IJLi3ELi4EEEESY_EEENSU_IJLi3ELi5ELi4EEEElEES1F_NS_35ThreadGroupTensorSliceTransfer_v4r1INS_15ThisThreadBlockILi256EEENS_16tensor_operation12element_wise11PassThroughES2W_LNS_25InMemoryDataOperationEnumE0ENSU_IJLi8ELi256ELi16EEEENSU_IJLi8ELi32ELi1EEEENSU_IJLi1ELi0ELi2EEEES2_S2_RKS2Q_KS1F_S30_NSU_IJLi0ELi1ELi2EEEELi2ELi2ELi16ELi16ELi1ELi1ELb0ELb1ELi2EiEENS_13DynamicBufferILNS_16AddressSpaceEnumE1EKS2_lLb1ELNS_22AmdBufferCoherenceEnumE0EiEENS5_IJNS36_ILS37_2ES2_S1E_Lb1ELS39_0EiEES3B_EEENS5_IJiiiEEENS4_INS5_IJNS6_INS5_IJiiiiEEENS5_IJiiiSD_EEELb0EEEEEES1K_S1M_S1L_lEENS_32ThreadwiseTensorSliceTransfer_v2IS3_S3_RKS3I_KS1O_NSU_IJLi8ELi1ELi1ELi32EEEENSU_IJLi1ELi2ELi0ELi3EEEELi3ELi32ELi0ELb1ELb0ELb0EEENS36_ILS37_1EKS3_lLb1ELS39_0EiEENS5_IJNS_12StaticBufferILS37_4ES3_Li256ELb1EEES3T_EEES3E_NS_25StaticBufferTupleOfVectorILS37_4EfLi64ELi4ELb1ELb0EEEEEvRKT1_RKT2_RT3_RKT4_RT5_RKT6_RKT7_RT8_RKT9_RT10_RKT11_RT12_i.private_seg_size)
	.set _ZN2ck45kernel_gemm_xdl_cshuffle_v3_b_preshuffle_2ldsINS_41GridwiseGemm_xdl_cshuffle_v3_b_preshuffleINS_13tensor_layout4gemm8RowMajorENS3_11ColumnMajorES4_NS_9f8_fnuz_tENS_7pk_i4_tEfDF16_DF16_NS_16tensor_operation12element_wise11PassThroughESA_SA_LNS8_6device18GemmSpecializationE0ELi256ELi256ELi256ELi128ELi16ELi32ELi16ELi16ELi8ELi8ENS_8SequenceIJLi8ELi32ELi1EEEENSD_IJLi1ELi0ELi2EEEESF_Li2ELi16ELi16ELb0ELi0ENSD_IJLi4ELi64ELi1EEEESF_SF_Li2ELi32ELi32ELb0ELi0ELi1ELi1ENSD_IJLi1ELi32ELi1ELi8EEEELi4ELNS_26BlockGemmPipelineSchedulerE0ELNS_24BlockGemmPipelineVersionE2ES6_S6_Lb0ELb0ELi0EEELb1ELNS_25InMemoryDataOperationEnumE0ELi1ELNS_10TailNumberE0EEEvNT_8ArgumentE.uses_vcc, or(1, .L_ZNK2ck52BlockwiseGemmXdlops_pipeline_bpreshuffle_bdequant_v3ILNS_26BlockGemmPipelineSchedulerE0ELi256ENS_9f8_fnuz_tENS_7pk_i4_tES2_fNS_16TensorDescriptorINS_5TupleIJNS_5EmbedINS5_IJNS_17integral_constantIiLi8EEENS7_IiLi256EEENS7_IiLi16EEEEEENS5_IJSA_NS7_IiLi128EEENS7_IiLi1EEEEEELb0EEENS_3XorINS5_IJS9_S8_EEELb1EEENS_11PassThroughISA_EENS_7UnMergeINS5_IJS8_SD_EEELb0EEENSJ_IS9_EESK_NSJ_IS8_EENS_21Merge_v3_division_modINS5_IJS9_SD_EEEEESK_EEENS5_IJNS_8SequenceIJLi0EEEENSU_IJLi2ELi1EEEENSU_IJLi3EEEENSU_IJLi5EEEENSU_IJLi4EEEENSU_IJLi6EEEENSU_IJLi7EEEENSU_IJLi9ELi8EEEENSU_IJLi10EEEEEEENS5_IJNSU_IJLi1ELi2ELi3EEEENSU_IJLi4ELi5EEEES10_NSU_IJLi7ELi8EEEENSU_IJLi9EEEES13_NSU_IJLi11EEEENSU_IJLi12EEEENSU_IJLi13EEEEEEENSU_IJLi11ELi12ELi13EEEENS7_IlLl32768EEEEENS4_INS5_IJNSL_INS5_IJS8_SD_SD_NS7_IiLi32EEEEEELb0EEEEEENS5_IJSV_EEENS5_IJNSU_IJLi1ELi2ELi3ELi4EEEEEEES1L_NS7_IlLl256EEEEENS4_INS5_IJSF_SI_SK_SN_SO_SK_SP_SS_SK_NSQ_INS5_IJS8_SA_EEEEENSL_INS5_IJS8_NS7_IiLi2EEESA_EEELb0EEEEEENS5_IJSV_SW_SX_SY_SZ_S10_S11_S12_S13_NSU_IJLi11ELi13EEEES1A_EEENS5_IJS15_S16_S10_S17_S18_S13_S19_S1A_S1B_NSU_IJLi14EEEENSU_IJLi15ELi16ELi17EEEEEEENSU_IJLi15ELi16ELi17ELi14EEEES1E_EENS4_INS5_IJS1I_NSQ_ISM_EES1T_EEENS5_IJSV_NSU_IJLi1ELi3EEEENSU_IJLi2EEEEEEENS5_IJS1L_SY_NSU_IJLi6ELi7ELi8EEEEEEENSU_IJLi6ELi7ELi8ELi5EEEES1N_EELi16ELi32ELi256ELi256ELi128ELi16ELi16ELi8ELi8ELi32ELb0EE3RunILb1ELNS_10TailNumberE0ENS4_INS5_IJNS6_INS5_IJiiEEENS5_IJiSD_EEELb0EEENSL_IS2E_Lb0EEENSJ_IiEEEEENS5_IJSV_S25_NSU_IJLi1EEEEEEENS5_IJNSU_IJLi1ELi2EEEENSU_IJLi3ELi4EEEESY_EEENSU_IJLi3ELi5ELi4EEEElEES1F_NS_35ThreadGroupTensorSliceTransfer_v4r1INS_15ThisThreadBlockILi256EEENS_16tensor_operation12element_wise11PassThroughES2W_LNS_25InMemoryDataOperationEnumE0ENSU_IJLi8ELi256ELi16EEEENSU_IJLi8ELi32ELi1EEEENSU_IJLi1ELi0ELi2EEEES2_S2_RKS2Q_KS1F_S30_NSU_IJLi0ELi1ELi2EEEELi2ELi2ELi16ELi16ELi1ELi1ELb0ELb1ELi2EiEENS_13DynamicBufferILNS_16AddressSpaceEnumE1EKS2_lLb1ELNS_22AmdBufferCoherenceEnumE0EiEENS5_IJNS36_ILS37_2ES2_S1E_Lb1ELS39_0EiEES3B_EEENS5_IJiiiEEENS4_INS5_IJNS6_INS5_IJiiiiEEENS5_IJiiiSD_EEELb0EEEEEES1K_S1M_S1L_lEENS_32ThreadwiseTensorSliceTransfer_v2IS3_S3_RKS3I_KS1O_NSU_IJLi8ELi1ELi1ELi32EEEENSU_IJLi1ELi2ELi0ELi3EEEELi3ELi32ELi0ELb1ELb0ELb0EEENS36_ILS37_1EKS3_lLb1ELS39_0EiEENS5_IJNS_12StaticBufferILS37_4ES3_Li256ELb1EEES3T_EEES3E_NS_25StaticBufferTupleOfVectorILS37_4EfLi64ELi4ELb1ELb0EEEEEvRKT1_RKT2_RT3_RKT4_RT5_RKT6_RKT7_RT8_RKT9_RT10_RKT11_RT12_i.uses_vcc)
	.set _ZN2ck45kernel_gemm_xdl_cshuffle_v3_b_preshuffle_2ldsINS_41GridwiseGemm_xdl_cshuffle_v3_b_preshuffleINS_13tensor_layout4gemm8RowMajorENS3_11ColumnMajorES4_NS_9f8_fnuz_tENS_7pk_i4_tEfDF16_DF16_NS_16tensor_operation12element_wise11PassThroughESA_SA_LNS8_6device18GemmSpecializationE0ELi256ELi256ELi256ELi128ELi16ELi32ELi16ELi16ELi8ELi8ENS_8SequenceIJLi8ELi32ELi1EEEENSD_IJLi1ELi0ELi2EEEESF_Li2ELi16ELi16ELb0ELi0ENSD_IJLi4ELi64ELi1EEEESF_SF_Li2ELi32ELi32ELb0ELi0ELi1ELi1ENSD_IJLi1ELi32ELi1ELi8EEEELi4ELNS_26BlockGemmPipelineSchedulerE0ELNS_24BlockGemmPipelineVersionE2ES6_S6_Lb0ELb0ELi0EEELb1ELNS_25InMemoryDataOperationEnumE0ELi1ELNS_10TailNumberE0EEEvNT_8ArgumentE.uses_flat_scratch, or(0, .L_ZNK2ck52BlockwiseGemmXdlops_pipeline_bpreshuffle_bdequant_v3ILNS_26BlockGemmPipelineSchedulerE0ELi256ENS_9f8_fnuz_tENS_7pk_i4_tES2_fNS_16TensorDescriptorINS_5TupleIJNS_5EmbedINS5_IJNS_17integral_constantIiLi8EEENS7_IiLi256EEENS7_IiLi16EEEEEENS5_IJSA_NS7_IiLi128EEENS7_IiLi1EEEEEELb0EEENS_3XorINS5_IJS9_S8_EEELb1EEENS_11PassThroughISA_EENS_7UnMergeINS5_IJS8_SD_EEELb0EEENSJ_IS9_EESK_NSJ_IS8_EENS_21Merge_v3_division_modINS5_IJS9_SD_EEEEESK_EEENS5_IJNS_8SequenceIJLi0EEEENSU_IJLi2ELi1EEEENSU_IJLi3EEEENSU_IJLi5EEEENSU_IJLi4EEEENSU_IJLi6EEEENSU_IJLi7EEEENSU_IJLi9ELi8EEEENSU_IJLi10EEEEEEENS5_IJNSU_IJLi1ELi2ELi3EEEENSU_IJLi4ELi5EEEES10_NSU_IJLi7ELi8EEEENSU_IJLi9EEEES13_NSU_IJLi11EEEENSU_IJLi12EEEENSU_IJLi13EEEEEEENSU_IJLi11ELi12ELi13EEEENS7_IlLl32768EEEEENS4_INS5_IJNSL_INS5_IJS8_SD_SD_NS7_IiLi32EEEEEELb0EEEEEENS5_IJSV_EEENS5_IJNSU_IJLi1ELi2ELi3ELi4EEEEEEES1L_NS7_IlLl256EEEEENS4_INS5_IJSF_SI_SK_SN_SO_SK_SP_SS_SK_NSQ_INS5_IJS8_SA_EEEEENSL_INS5_IJS8_NS7_IiLi2EEESA_EEELb0EEEEEENS5_IJSV_SW_SX_SY_SZ_S10_S11_S12_S13_NSU_IJLi11ELi13EEEES1A_EEENS5_IJS15_S16_S10_S17_S18_S13_S19_S1A_S1B_NSU_IJLi14EEEENSU_IJLi15ELi16ELi17EEEEEEENSU_IJLi15ELi16ELi17ELi14EEEES1E_EENS4_INS5_IJS1I_NSQ_ISM_EES1T_EEENS5_IJSV_NSU_IJLi1ELi3EEEENSU_IJLi2EEEEEEENS5_IJS1L_SY_NSU_IJLi6ELi7ELi8EEEEEEENSU_IJLi6ELi7ELi8ELi5EEEES1N_EELi16ELi32ELi256ELi256ELi128ELi16ELi16ELi8ELi8ELi32ELb0EE3RunILb1ELNS_10TailNumberE0ENS4_INS5_IJNS6_INS5_IJiiEEENS5_IJiSD_EEELb0EEENSL_IS2E_Lb0EEENSJ_IiEEEEENS5_IJSV_S25_NSU_IJLi1EEEEEEENS5_IJNSU_IJLi1ELi2EEEENSU_IJLi3ELi4EEEESY_EEENSU_IJLi3ELi5ELi4EEEElEES1F_NS_35ThreadGroupTensorSliceTransfer_v4r1INS_15ThisThreadBlockILi256EEENS_16tensor_operation12element_wise11PassThroughES2W_LNS_25InMemoryDataOperationEnumE0ENSU_IJLi8ELi256ELi16EEEENSU_IJLi8ELi32ELi1EEEENSU_IJLi1ELi0ELi2EEEES2_S2_RKS2Q_KS1F_S30_NSU_IJLi0ELi1ELi2EEEELi2ELi2ELi16ELi16ELi1ELi1ELb0ELb1ELi2EiEENS_13DynamicBufferILNS_16AddressSpaceEnumE1EKS2_lLb1ELNS_22AmdBufferCoherenceEnumE0EiEENS5_IJNS36_ILS37_2ES2_S1E_Lb1ELS39_0EiEES3B_EEENS5_IJiiiEEENS4_INS5_IJNS6_INS5_IJiiiiEEENS5_IJiiiSD_EEELb0EEEEEES1K_S1M_S1L_lEENS_32ThreadwiseTensorSliceTransfer_v2IS3_S3_RKS3I_KS1O_NSU_IJLi8ELi1ELi1ELi32EEEENSU_IJLi1ELi2ELi0ELi3EEEELi3ELi32ELi0ELb1ELb0ELb0EEENS36_ILS37_1EKS3_lLb1ELS39_0EiEENS5_IJNS_12StaticBufferILS37_4ES3_Li256ELb1EEES3T_EEES3E_NS_25StaticBufferTupleOfVectorILS37_4EfLi64ELi4ELb1ELb0EEEEEvRKT1_RKT2_RT3_RKT4_RT5_RKT6_RKT7_RT8_RKT9_RT10_RKT11_RT12_i.uses_flat_scratch)
	.set _ZN2ck45kernel_gemm_xdl_cshuffle_v3_b_preshuffle_2ldsINS_41GridwiseGemm_xdl_cshuffle_v3_b_preshuffleINS_13tensor_layout4gemm8RowMajorENS3_11ColumnMajorES4_NS_9f8_fnuz_tENS_7pk_i4_tEfDF16_DF16_NS_16tensor_operation12element_wise11PassThroughESA_SA_LNS8_6device18GemmSpecializationE0ELi256ELi256ELi256ELi128ELi16ELi32ELi16ELi16ELi8ELi8ENS_8SequenceIJLi8ELi32ELi1EEEENSD_IJLi1ELi0ELi2EEEESF_Li2ELi16ELi16ELb0ELi0ENSD_IJLi4ELi64ELi1EEEESF_SF_Li2ELi32ELi32ELb0ELi0ELi1ELi1ENSD_IJLi1ELi32ELi1ELi8EEEELi4ELNS_26BlockGemmPipelineSchedulerE0ELNS_24BlockGemmPipelineVersionE2ES6_S6_Lb0ELb0ELi0EEELb1ELNS_25InMemoryDataOperationEnumE0ELi1ELNS_10TailNumberE0EEEvNT_8ArgumentE.has_dyn_sized_stack, or(0, .L_ZNK2ck52BlockwiseGemmXdlops_pipeline_bpreshuffle_bdequant_v3ILNS_26BlockGemmPipelineSchedulerE0ELi256ENS_9f8_fnuz_tENS_7pk_i4_tES2_fNS_16TensorDescriptorINS_5TupleIJNS_5EmbedINS5_IJNS_17integral_constantIiLi8EEENS7_IiLi256EEENS7_IiLi16EEEEEENS5_IJSA_NS7_IiLi128EEENS7_IiLi1EEEEEELb0EEENS_3XorINS5_IJS9_S8_EEELb1EEENS_11PassThroughISA_EENS_7UnMergeINS5_IJS8_SD_EEELb0EEENSJ_IS9_EESK_NSJ_IS8_EENS_21Merge_v3_division_modINS5_IJS9_SD_EEEEESK_EEENS5_IJNS_8SequenceIJLi0EEEENSU_IJLi2ELi1EEEENSU_IJLi3EEEENSU_IJLi5EEEENSU_IJLi4EEEENSU_IJLi6EEEENSU_IJLi7EEEENSU_IJLi9ELi8EEEENSU_IJLi10EEEEEEENS5_IJNSU_IJLi1ELi2ELi3EEEENSU_IJLi4ELi5EEEES10_NSU_IJLi7ELi8EEEENSU_IJLi9EEEES13_NSU_IJLi11EEEENSU_IJLi12EEEENSU_IJLi13EEEEEEENSU_IJLi11ELi12ELi13EEEENS7_IlLl32768EEEEENS4_INS5_IJNSL_INS5_IJS8_SD_SD_NS7_IiLi32EEEEEELb0EEEEEENS5_IJSV_EEENS5_IJNSU_IJLi1ELi2ELi3ELi4EEEEEEES1L_NS7_IlLl256EEEEENS4_INS5_IJSF_SI_SK_SN_SO_SK_SP_SS_SK_NSQ_INS5_IJS8_SA_EEEEENSL_INS5_IJS8_NS7_IiLi2EEESA_EEELb0EEEEEENS5_IJSV_SW_SX_SY_SZ_S10_S11_S12_S13_NSU_IJLi11ELi13EEEES1A_EEENS5_IJS15_S16_S10_S17_S18_S13_S19_S1A_S1B_NSU_IJLi14EEEENSU_IJLi15ELi16ELi17EEEEEEENSU_IJLi15ELi16ELi17ELi14EEEES1E_EENS4_INS5_IJS1I_NSQ_ISM_EES1T_EEENS5_IJSV_NSU_IJLi1ELi3EEEENSU_IJLi2EEEEEEENS5_IJS1L_SY_NSU_IJLi6ELi7ELi8EEEEEEENSU_IJLi6ELi7ELi8ELi5EEEES1N_EELi16ELi32ELi256ELi256ELi128ELi16ELi16ELi8ELi8ELi32ELb0EE3RunILb1ELNS_10TailNumberE0ENS4_INS5_IJNS6_INS5_IJiiEEENS5_IJiSD_EEELb0EEENSL_IS2E_Lb0EEENSJ_IiEEEEENS5_IJSV_S25_NSU_IJLi1EEEEEEENS5_IJNSU_IJLi1ELi2EEEENSU_IJLi3ELi4EEEESY_EEENSU_IJLi3ELi5ELi4EEEElEES1F_NS_35ThreadGroupTensorSliceTransfer_v4r1INS_15ThisThreadBlockILi256EEENS_16tensor_operation12element_wise11PassThroughES2W_LNS_25InMemoryDataOperationEnumE0ENSU_IJLi8ELi256ELi16EEEENSU_IJLi8ELi32ELi1EEEENSU_IJLi1ELi0ELi2EEEES2_S2_RKS2Q_KS1F_S30_NSU_IJLi0ELi1ELi2EEEELi2ELi2ELi16ELi16ELi1ELi1ELb0ELb1ELi2EiEENS_13DynamicBufferILNS_16AddressSpaceEnumE1EKS2_lLb1ELNS_22AmdBufferCoherenceEnumE0EiEENS5_IJNS36_ILS37_2ES2_S1E_Lb1ELS39_0EiEES3B_EEENS5_IJiiiEEENS4_INS5_IJNS6_INS5_IJiiiiEEENS5_IJiiiSD_EEELb0EEEEEES1K_S1M_S1L_lEENS_32ThreadwiseTensorSliceTransfer_v2IS3_S3_RKS3I_KS1O_NSU_IJLi8ELi1ELi1ELi32EEEENSU_IJLi1ELi2ELi0ELi3EEEELi3ELi32ELi0ELb1ELb0ELb0EEENS36_ILS37_1EKS3_lLb1ELS39_0EiEENS5_IJNS_12StaticBufferILS37_4ES3_Li256ELb1EEES3T_EEES3E_NS_25StaticBufferTupleOfVectorILS37_4EfLi64ELi4ELb1ELb0EEEEEvRKT1_RKT2_RT3_RKT4_RT5_RKT6_RKT7_RT8_RKT9_RT10_RKT11_RT12_i.has_dyn_sized_stack)
	.set _ZN2ck45kernel_gemm_xdl_cshuffle_v3_b_preshuffle_2ldsINS_41GridwiseGemm_xdl_cshuffle_v3_b_preshuffleINS_13tensor_layout4gemm8RowMajorENS3_11ColumnMajorES4_NS_9f8_fnuz_tENS_7pk_i4_tEfDF16_DF16_NS_16tensor_operation12element_wise11PassThroughESA_SA_LNS8_6device18GemmSpecializationE0ELi256ELi256ELi256ELi128ELi16ELi32ELi16ELi16ELi8ELi8ENS_8SequenceIJLi8ELi32ELi1EEEENSD_IJLi1ELi0ELi2EEEESF_Li2ELi16ELi16ELb0ELi0ENSD_IJLi4ELi64ELi1EEEESF_SF_Li2ELi32ELi32ELb0ELi0ELi1ELi1ENSD_IJLi1ELi32ELi1ELi8EEEELi4ELNS_26BlockGemmPipelineSchedulerE0ELNS_24BlockGemmPipelineVersionE2ES6_S6_Lb0ELb0ELi0EEELb1ELNS_25InMemoryDataOperationEnumE0ELi1ELNS_10TailNumberE0EEEvNT_8ArgumentE.has_recursion, or(0, .L_ZNK2ck52BlockwiseGemmXdlops_pipeline_bpreshuffle_bdequant_v3ILNS_26BlockGemmPipelineSchedulerE0ELi256ENS_9f8_fnuz_tENS_7pk_i4_tES2_fNS_16TensorDescriptorINS_5TupleIJNS_5EmbedINS5_IJNS_17integral_constantIiLi8EEENS7_IiLi256EEENS7_IiLi16EEEEEENS5_IJSA_NS7_IiLi128EEENS7_IiLi1EEEEEELb0EEENS_3XorINS5_IJS9_S8_EEELb1EEENS_11PassThroughISA_EENS_7UnMergeINS5_IJS8_SD_EEELb0EEENSJ_IS9_EESK_NSJ_IS8_EENS_21Merge_v3_division_modINS5_IJS9_SD_EEEEESK_EEENS5_IJNS_8SequenceIJLi0EEEENSU_IJLi2ELi1EEEENSU_IJLi3EEEENSU_IJLi5EEEENSU_IJLi4EEEENSU_IJLi6EEEENSU_IJLi7EEEENSU_IJLi9ELi8EEEENSU_IJLi10EEEEEEENS5_IJNSU_IJLi1ELi2ELi3EEEENSU_IJLi4ELi5EEEES10_NSU_IJLi7ELi8EEEENSU_IJLi9EEEES13_NSU_IJLi11EEEENSU_IJLi12EEEENSU_IJLi13EEEEEEENSU_IJLi11ELi12ELi13EEEENS7_IlLl32768EEEEENS4_INS5_IJNSL_INS5_IJS8_SD_SD_NS7_IiLi32EEEEEELb0EEEEEENS5_IJSV_EEENS5_IJNSU_IJLi1ELi2ELi3ELi4EEEEEEES1L_NS7_IlLl256EEEEENS4_INS5_IJSF_SI_SK_SN_SO_SK_SP_SS_SK_NSQ_INS5_IJS8_SA_EEEEENSL_INS5_IJS8_NS7_IiLi2EEESA_EEELb0EEEEEENS5_IJSV_SW_SX_SY_SZ_S10_S11_S12_S13_NSU_IJLi11ELi13EEEES1A_EEENS5_IJS15_S16_S10_S17_S18_S13_S19_S1A_S1B_NSU_IJLi14EEEENSU_IJLi15ELi16ELi17EEEEEEENSU_IJLi15ELi16ELi17ELi14EEEES1E_EENS4_INS5_IJS1I_NSQ_ISM_EES1T_EEENS5_IJSV_NSU_IJLi1ELi3EEEENSU_IJLi2EEEEEEENS5_IJS1L_SY_NSU_IJLi6ELi7ELi8EEEEEEENSU_IJLi6ELi7ELi8ELi5EEEES1N_EELi16ELi32ELi256ELi256ELi128ELi16ELi16ELi8ELi8ELi32ELb0EE3RunILb1ELNS_10TailNumberE0ENS4_INS5_IJNS6_INS5_IJiiEEENS5_IJiSD_EEELb0EEENSL_IS2E_Lb0EEENSJ_IiEEEEENS5_IJSV_S25_NSU_IJLi1EEEEEEENS5_IJNSU_IJLi1ELi2EEEENSU_IJLi3ELi4EEEESY_EEENSU_IJLi3ELi5ELi4EEEElEES1F_NS_35ThreadGroupTensorSliceTransfer_v4r1INS_15ThisThreadBlockILi256EEENS_16tensor_operation12element_wise11PassThroughES2W_LNS_25InMemoryDataOperationEnumE0ENSU_IJLi8ELi256ELi16EEEENSU_IJLi8ELi32ELi1EEEENSU_IJLi1ELi0ELi2EEEES2_S2_RKS2Q_KS1F_S30_NSU_IJLi0ELi1ELi2EEEELi2ELi2ELi16ELi16ELi1ELi1ELb0ELb1ELi2EiEENS_13DynamicBufferILNS_16AddressSpaceEnumE1EKS2_lLb1ELNS_22AmdBufferCoherenceEnumE0EiEENS5_IJNS36_ILS37_2ES2_S1E_Lb1ELS39_0EiEES3B_EEENS5_IJiiiEEENS4_INS5_IJNS6_INS5_IJiiiiEEENS5_IJiiiSD_EEELb0EEEEEES1K_S1M_S1L_lEENS_32ThreadwiseTensorSliceTransfer_v2IS3_S3_RKS3I_KS1O_NSU_IJLi8ELi1ELi1ELi32EEEENSU_IJLi1ELi2ELi0ELi3EEEELi3ELi32ELi0ELb1ELb0ELb0EEENS36_ILS37_1EKS3_lLb1ELS39_0EiEENS5_IJNS_12StaticBufferILS37_4ES3_Li256ELb1EEES3T_EEES3E_NS_25StaticBufferTupleOfVectorILS37_4EfLi64ELi4ELb1ELb0EEEEEvRKT1_RKT2_RT3_RKT4_RT5_RKT6_RKT7_RT8_RKT9_RT10_RKT11_RT12_i.has_recursion)
	.set _ZN2ck45kernel_gemm_xdl_cshuffle_v3_b_preshuffle_2ldsINS_41GridwiseGemm_xdl_cshuffle_v3_b_preshuffleINS_13tensor_layout4gemm8RowMajorENS3_11ColumnMajorES4_NS_9f8_fnuz_tENS_7pk_i4_tEfDF16_DF16_NS_16tensor_operation12element_wise11PassThroughESA_SA_LNS8_6device18GemmSpecializationE0ELi256ELi256ELi256ELi128ELi16ELi32ELi16ELi16ELi8ELi8ENS_8SequenceIJLi8ELi32ELi1EEEENSD_IJLi1ELi0ELi2EEEESF_Li2ELi16ELi16ELb0ELi0ENSD_IJLi4ELi64ELi1EEEESF_SF_Li2ELi32ELi32ELb0ELi0ELi1ELi1ENSD_IJLi1ELi32ELi1ELi8EEEELi4ELNS_26BlockGemmPipelineSchedulerE0ELNS_24BlockGemmPipelineVersionE2ES6_S6_Lb0ELb0ELi0EEELb1ELNS_25InMemoryDataOperationEnumE0ELi1ELNS_10TailNumberE0EEEvNT_8ArgumentE.has_indirect_call, or(0, .L_ZNK2ck52BlockwiseGemmXdlops_pipeline_bpreshuffle_bdequant_v3ILNS_26BlockGemmPipelineSchedulerE0ELi256ENS_9f8_fnuz_tENS_7pk_i4_tES2_fNS_16TensorDescriptorINS_5TupleIJNS_5EmbedINS5_IJNS_17integral_constantIiLi8EEENS7_IiLi256EEENS7_IiLi16EEEEEENS5_IJSA_NS7_IiLi128EEENS7_IiLi1EEEEEELb0EEENS_3XorINS5_IJS9_S8_EEELb1EEENS_11PassThroughISA_EENS_7UnMergeINS5_IJS8_SD_EEELb0EEENSJ_IS9_EESK_NSJ_IS8_EENS_21Merge_v3_division_modINS5_IJS9_SD_EEEEESK_EEENS5_IJNS_8SequenceIJLi0EEEENSU_IJLi2ELi1EEEENSU_IJLi3EEEENSU_IJLi5EEEENSU_IJLi4EEEENSU_IJLi6EEEENSU_IJLi7EEEENSU_IJLi9ELi8EEEENSU_IJLi10EEEEEEENS5_IJNSU_IJLi1ELi2ELi3EEEENSU_IJLi4ELi5EEEES10_NSU_IJLi7ELi8EEEENSU_IJLi9EEEES13_NSU_IJLi11EEEENSU_IJLi12EEEENSU_IJLi13EEEEEEENSU_IJLi11ELi12ELi13EEEENS7_IlLl32768EEEEENS4_INS5_IJNSL_INS5_IJS8_SD_SD_NS7_IiLi32EEEEEELb0EEEEEENS5_IJSV_EEENS5_IJNSU_IJLi1ELi2ELi3ELi4EEEEEEES1L_NS7_IlLl256EEEEENS4_INS5_IJSF_SI_SK_SN_SO_SK_SP_SS_SK_NSQ_INS5_IJS8_SA_EEEEENSL_INS5_IJS8_NS7_IiLi2EEESA_EEELb0EEEEEENS5_IJSV_SW_SX_SY_SZ_S10_S11_S12_S13_NSU_IJLi11ELi13EEEES1A_EEENS5_IJS15_S16_S10_S17_S18_S13_S19_S1A_S1B_NSU_IJLi14EEEENSU_IJLi15ELi16ELi17EEEEEEENSU_IJLi15ELi16ELi17ELi14EEEES1E_EENS4_INS5_IJS1I_NSQ_ISM_EES1T_EEENS5_IJSV_NSU_IJLi1ELi3EEEENSU_IJLi2EEEEEEENS5_IJS1L_SY_NSU_IJLi6ELi7ELi8EEEEEEENSU_IJLi6ELi7ELi8ELi5EEEES1N_EELi16ELi32ELi256ELi256ELi128ELi16ELi16ELi8ELi8ELi32ELb0EE3RunILb1ELNS_10TailNumberE0ENS4_INS5_IJNS6_INS5_IJiiEEENS5_IJiSD_EEELb0EEENSL_IS2E_Lb0EEENSJ_IiEEEEENS5_IJSV_S25_NSU_IJLi1EEEEEEENS5_IJNSU_IJLi1ELi2EEEENSU_IJLi3ELi4EEEESY_EEENSU_IJLi3ELi5ELi4EEEElEES1F_NS_35ThreadGroupTensorSliceTransfer_v4r1INS_15ThisThreadBlockILi256EEENS_16tensor_operation12element_wise11PassThroughES2W_LNS_25InMemoryDataOperationEnumE0ENSU_IJLi8ELi256ELi16EEEENSU_IJLi8ELi32ELi1EEEENSU_IJLi1ELi0ELi2EEEES2_S2_RKS2Q_KS1F_S30_NSU_IJLi0ELi1ELi2EEEELi2ELi2ELi16ELi16ELi1ELi1ELb0ELb1ELi2EiEENS_13DynamicBufferILNS_16AddressSpaceEnumE1EKS2_lLb1ELNS_22AmdBufferCoherenceEnumE0EiEENS5_IJNS36_ILS37_2ES2_S1E_Lb1ELS39_0EiEES3B_EEENS5_IJiiiEEENS4_INS5_IJNS6_INS5_IJiiiiEEENS5_IJiiiSD_EEELb0EEEEEES1K_S1M_S1L_lEENS_32ThreadwiseTensorSliceTransfer_v2IS3_S3_RKS3I_KS1O_NSU_IJLi8ELi1ELi1ELi32EEEENSU_IJLi1ELi2ELi0ELi3EEEELi3ELi32ELi0ELb1ELb0ELb0EEENS36_ILS37_1EKS3_lLb1ELS39_0EiEENS5_IJNS_12StaticBufferILS37_4ES3_Li256ELb1EEES3T_EEES3E_NS_25StaticBufferTupleOfVectorILS37_4EfLi64ELi4ELb1ELb0EEEEEvRKT1_RKT2_RT3_RKT4_RT5_RKT6_RKT7_RT8_RKT9_RT10_RKT11_RT12_i.has_indirect_call)
	.section	.AMDGPU.csdata,"",@progbits
; Kernel info:
; codeLenInByte = 10712
; TotalNumSgprs: 46
; NumVgprs: 256
; NumAgprs: 50
; TotalNumVgprs: 306
; ScratchSize: 3312
; MemoryBound: 0
; FloatMode: 240
; IeeeMode: 1
; LDSByteSize: 65536 bytes/workgroup (compile time only)
; SGPRBlocks: 12
; VGPRBlocks: 38
; NumSGPRsForWavesPerEU: 102
; NumVGPRsForWavesPerEU: 306
; AccumOffset: 256
; Occupancy: 1
; WaveLimiterHint : 1
; COMPUTE_PGM_RSRC2:SCRATCH_EN: 1
; COMPUTE_PGM_RSRC2:USER_SGPR: 2
; COMPUTE_PGM_RSRC2:TRAP_HANDLER: 0
; COMPUTE_PGM_RSRC2:TGID_X_EN: 1
; COMPUTE_PGM_RSRC2:TGID_Y_EN: 0
; COMPUTE_PGM_RSRC2:TGID_Z_EN: 1
; COMPUTE_PGM_RSRC2:TIDIG_COMP_CNT: 0
; COMPUTE_PGM_RSRC3_GFX90A:ACCUM_OFFSET: 63
; COMPUTE_PGM_RSRC3_GFX90A:TG_SPLIT: 0
	.section	.text._ZN2ck45kernel_gemm_xdl_cshuffle_v3_b_preshuffle_2ldsINS_41GridwiseGemm_xdl_cshuffle_v3_b_preshuffleINS_13tensor_layout4gemm8RowMajorENS3_11ColumnMajorES4_NS_9f8_fnuz_tENS_7pk_i4_tEfDF16_DF16_NS_16tensor_operation12element_wise11PassThroughESA_SA_LNS8_6device18GemmSpecializationE0ELi256ELi256ELi256ELi128ELi16ELi32ELi16ELi16ELi8ELi8ENS_8SequenceIJLi8ELi32ELi1EEEENSD_IJLi1ELi0ELi2EEEESF_Li2ELi16ELi16ELb0ELi0ENSD_IJLi4ELi64ELi1EEEESF_SF_Li2ELi32ELi32ELb0ELi0ELi1ELi1ENSD_IJLi1ELi32ELi1ELi8EEEELi4ELNS_26BlockGemmPipelineSchedulerE0ELNS_24BlockGemmPipelineVersionE2ES6_S6_Lb0ELb0ELi0EEELb1ELNS_25InMemoryDataOperationEnumE0ELi1ELNS_10TailNumberE1EEEvNT_8ArgumentE,"axG",@progbits,_ZN2ck45kernel_gemm_xdl_cshuffle_v3_b_preshuffle_2ldsINS_41GridwiseGemm_xdl_cshuffle_v3_b_preshuffleINS_13tensor_layout4gemm8RowMajorENS3_11ColumnMajorES4_NS_9f8_fnuz_tENS_7pk_i4_tEfDF16_DF16_NS_16tensor_operation12element_wise11PassThroughESA_SA_LNS8_6device18GemmSpecializationE0ELi256ELi256ELi256ELi128ELi16ELi32ELi16ELi16ELi8ELi8ENS_8SequenceIJLi8ELi32ELi1EEEENSD_IJLi1ELi0ELi2EEEESF_Li2ELi16ELi16ELb0ELi0ENSD_IJLi4ELi64ELi1EEEESF_SF_Li2ELi32ELi32ELb0ELi0ELi1ELi1ENSD_IJLi1ELi32ELi1ELi8EEEELi4ELNS_26BlockGemmPipelineSchedulerE0ELNS_24BlockGemmPipelineVersionE2ES6_S6_Lb0ELb0ELi0EEELb1ELNS_25InMemoryDataOperationEnumE0ELi1ELNS_10TailNumberE1EEEvNT_8ArgumentE,comdat
	.protected	_ZN2ck45kernel_gemm_xdl_cshuffle_v3_b_preshuffle_2ldsINS_41GridwiseGemm_xdl_cshuffle_v3_b_preshuffleINS_13tensor_layout4gemm8RowMajorENS3_11ColumnMajorES4_NS_9f8_fnuz_tENS_7pk_i4_tEfDF16_DF16_NS_16tensor_operation12element_wise11PassThroughESA_SA_LNS8_6device18GemmSpecializationE0ELi256ELi256ELi256ELi128ELi16ELi32ELi16ELi16ELi8ELi8ENS_8SequenceIJLi8ELi32ELi1EEEENSD_IJLi1ELi0ELi2EEEESF_Li2ELi16ELi16ELb0ELi0ENSD_IJLi4ELi64ELi1EEEESF_SF_Li2ELi32ELi32ELb0ELi0ELi1ELi1ENSD_IJLi1ELi32ELi1ELi8EEEELi4ELNS_26BlockGemmPipelineSchedulerE0ELNS_24BlockGemmPipelineVersionE2ES6_S6_Lb0ELb0ELi0EEELb1ELNS_25InMemoryDataOperationEnumE0ELi1ELNS_10TailNumberE1EEEvNT_8ArgumentE ; -- Begin function _ZN2ck45kernel_gemm_xdl_cshuffle_v3_b_preshuffle_2ldsINS_41GridwiseGemm_xdl_cshuffle_v3_b_preshuffleINS_13tensor_layout4gemm8RowMajorENS3_11ColumnMajorES4_NS_9f8_fnuz_tENS_7pk_i4_tEfDF16_DF16_NS_16tensor_operation12element_wise11PassThroughESA_SA_LNS8_6device18GemmSpecializationE0ELi256ELi256ELi256ELi128ELi16ELi32ELi16ELi16ELi8ELi8ENS_8SequenceIJLi8ELi32ELi1EEEENSD_IJLi1ELi0ELi2EEEESF_Li2ELi16ELi16ELb0ELi0ENSD_IJLi4ELi64ELi1EEEESF_SF_Li2ELi32ELi32ELb0ELi0ELi1ELi1ENSD_IJLi1ELi32ELi1ELi8EEEELi4ELNS_26BlockGemmPipelineSchedulerE0ELNS_24BlockGemmPipelineVersionE2ES6_S6_Lb0ELb0ELi0EEELb1ELNS_25InMemoryDataOperationEnumE0ELi1ELNS_10TailNumberE1EEEvNT_8ArgumentE
	.globl	_ZN2ck45kernel_gemm_xdl_cshuffle_v3_b_preshuffle_2ldsINS_41GridwiseGemm_xdl_cshuffle_v3_b_preshuffleINS_13tensor_layout4gemm8RowMajorENS3_11ColumnMajorES4_NS_9f8_fnuz_tENS_7pk_i4_tEfDF16_DF16_NS_16tensor_operation12element_wise11PassThroughESA_SA_LNS8_6device18GemmSpecializationE0ELi256ELi256ELi256ELi128ELi16ELi32ELi16ELi16ELi8ELi8ENS_8SequenceIJLi8ELi32ELi1EEEENSD_IJLi1ELi0ELi2EEEESF_Li2ELi16ELi16ELb0ELi0ENSD_IJLi4ELi64ELi1EEEESF_SF_Li2ELi32ELi32ELb0ELi0ELi1ELi1ENSD_IJLi1ELi32ELi1ELi8EEEELi4ELNS_26BlockGemmPipelineSchedulerE0ELNS_24BlockGemmPipelineVersionE2ES6_S6_Lb0ELb0ELi0EEELb1ELNS_25InMemoryDataOperationEnumE0ELi1ELNS_10TailNumberE1EEEvNT_8ArgumentE
	.p2align	8
	.type	_ZN2ck45kernel_gemm_xdl_cshuffle_v3_b_preshuffle_2ldsINS_41GridwiseGemm_xdl_cshuffle_v3_b_preshuffleINS_13tensor_layout4gemm8RowMajorENS3_11ColumnMajorES4_NS_9f8_fnuz_tENS_7pk_i4_tEfDF16_DF16_NS_16tensor_operation12element_wise11PassThroughESA_SA_LNS8_6device18GemmSpecializationE0ELi256ELi256ELi256ELi128ELi16ELi32ELi16ELi16ELi8ELi8ENS_8SequenceIJLi8ELi32ELi1EEEENSD_IJLi1ELi0ELi2EEEESF_Li2ELi16ELi16ELb0ELi0ENSD_IJLi4ELi64ELi1EEEESF_SF_Li2ELi32ELi32ELb0ELi0ELi1ELi1ENSD_IJLi1ELi32ELi1ELi8EEEELi4ELNS_26BlockGemmPipelineSchedulerE0ELNS_24BlockGemmPipelineVersionE2ES6_S6_Lb0ELb0ELi0EEELb1ELNS_25InMemoryDataOperationEnumE0ELi1ELNS_10TailNumberE1EEEvNT_8ArgumentE,@function
_ZN2ck45kernel_gemm_xdl_cshuffle_v3_b_preshuffle_2ldsINS_41GridwiseGemm_xdl_cshuffle_v3_b_preshuffleINS_13tensor_layout4gemm8RowMajorENS3_11ColumnMajorES4_NS_9f8_fnuz_tENS_7pk_i4_tEfDF16_DF16_NS_16tensor_operation12element_wise11PassThroughESA_SA_LNS8_6device18GemmSpecializationE0ELi256ELi256ELi256ELi128ELi16ELi32ELi16ELi16ELi8ELi8ENS_8SequenceIJLi8ELi32ELi1EEEENSD_IJLi1ELi0ELi2EEEESF_Li2ELi16ELi16ELb0ELi0ENSD_IJLi4ELi64ELi1EEEESF_SF_Li2ELi32ELi32ELb0ELi0ELi1ELi1ENSD_IJLi1ELi32ELi1ELi8EEEELi4ELNS_26BlockGemmPipelineSchedulerE0ELNS_24BlockGemmPipelineVersionE2ES6_S6_Lb0ELb0ELi0EEELb1ELNS_25InMemoryDataOperationEnumE0ELi1ELNS_10TailNumberE1EEEvNT_8ArgumentE: ; @_ZN2ck45kernel_gemm_xdl_cshuffle_v3_b_preshuffle_2ldsINS_41GridwiseGemm_xdl_cshuffle_v3_b_preshuffleINS_13tensor_layout4gemm8RowMajorENS3_11ColumnMajorES4_NS_9f8_fnuz_tENS_7pk_i4_tEfDF16_DF16_NS_16tensor_operation12element_wise11PassThroughESA_SA_LNS8_6device18GemmSpecializationE0ELi256ELi256ELi256ELi128ELi16ELi32ELi16ELi16ELi8ELi8ENS_8SequenceIJLi8ELi32ELi1EEEENSD_IJLi1ELi0ELi2EEEESF_Li2ELi16ELi16ELb0ELi0ENSD_IJLi4ELi64ELi1EEEESF_SF_Li2ELi32ELi32ELb0ELi0ELi1ELi1ENSD_IJLi1ELi32ELi1ELi8EEEELi4ELNS_26BlockGemmPipelineSchedulerE0ELNS_24BlockGemmPipelineVersionE2ES6_S6_Lb0ELb0ELi0EEELb1ELNS_25InMemoryDataOperationEnumE0ELi1ELNS_10TailNumberE1EEEvNT_8ArgumentE
; %bb.0:
	s_mov_b32 s24, s2
	s_load_dwordx4 s[28:31], s[0:1], 0x10
	s_load_dwordx2 s[26:27], s[0:1], 0x24
	s_load_dword s10, s[0:1], 0x68
	s_load_dword s2, s[0:1], 0x34
	;; [unrolled: 1-line block ×3, first 2 shown]
	s_load_dwordx2 s[8:9], s[0:1], 0x60
	s_load_dwordx4 s[4:7], s[0:1], 0x50
	s_waitcnt lgkmcnt(0)
	s_cmp_gt_i32 s27, 1
	s_cselect_b64 s[0:1], -1, 0
	s_bitcmp1_b32 s10, 0
	s_cselect_b64 s[10:11], -1, 0
	s_and_b64 s[0:1], s[0:1], s[10:11]
	v_mov_b32_e32 v11, v0
	s_andn2_b64 vcc, exec, s[0:1]
	s_mov_b64 s[10:11], 0
	s_movk_i32 s32, 0xcf0
	s_cbranch_vccnz .LBB6_2
; %bb.1:
	s_mul_i32 s0, s28, s3
	s_mul_i32 s10, s0, s29
	s_ashr_i32 s11, s10, 31
.LBB6_2:
	s_add_i32 s1, s27, -1
	s_mul_i32 s13, s1, s2
	s_sub_i32 s13, s30, s13
	s_mul_i32 s0, s2, s3
	s_cmp_lt_u32 s3, s1
	s_cselect_b32 s1, s2, s13
	s_ashr_i32 s2, s0, 31
	s_add_u32 s18, s4, s0
	s_addc_u32 s2, s5, s2
	s_add_i32 s0, s30, 0x7f
	s_ashr_i32 s4, s0, 31
	s_lshr_b32 s4, s4, 25
	s_add_i32 s13, s28, -1
	s_add_i32 s0, s0, s4
	s_mul_i32 s4, s13, s31
	s_add_i32 s16, s29, 15
	s_ashr_i32 s17, s0, 7
	s_ashr_i32 s5, s4, 31
	;; [unrolled: 1-line block ×3, first 2 shown]
	s_add_u32 s4, s4, s1
	s_addc_u32 s5, s5, s14
	s_mul_i32 s14, s28, s12
	s_lshl_b32 s14, s14, 4
	v_mov_b32_e32 v0, s28
	v_mov_b32_e32 v1, s1
	;; [unrolled: 1-line block ×3, first 2 shown]
	s_ashr_i32 s19, s16, 31
	v_mov_b32_e32 v4, 0
	scratch_store_dwordx3 off, v[0:2], off offset:3200
	scratch_store_dword off, v4, off offset:3212
	v_mov_b32_e32 v7, 16
	v_mov_b32_e32 v1, s14
	s_getpc_b64 s[14:15]
	s_add_u32 s14, s14, _ZN2ck41GridwiseGemm_xdl_cshuffle_v3_b_preshuffleINS_13tensor_layout4gemm8RowMajorENS2_11ColumnMajorES3_NS_9f8_fnuz_tENS_7pk_i4_tEfDF16_DF16_NS_16tensor_operation12element_wise11PassThroughES9_S9_LNS7_6device18GemmSpecializationE0ELi256ELi256ELi256ELi128ELi16ELi32ELi16ELi16ELi8ELi8ENS_8SequenceIJLi8ELi32ELi1EEEENSC_IJLi1ELi0ELi2EEEESE_Li2ELi16ELi16ELb0ELi0ENSC_IJLi4ELi64ELi1EEEESE_SE_Li2ELi32ELi32ELb0ELi0ELi1ELi1ENSC_IJLi1ELi32ELi1ELi8EEEELi4ELNS_26BlockGemmPipelineSchedulerE0ELNS_24BlockGemmPipelineVersionE2ES5_S5_Lb0ELb0ELi0EE5NWaveE@rel32@lo+4
	s_addc_u32 s15, s15, _ZN2ck41GridwiseGemm_xdl_cshuffle_v3_b_preshuffleINS_13tensor_layout4gemm8RowMajorENS2_11ColumnMajorES3_NS_9f8_fnuz_tENS_7pk_i4_tEfDF16_DF16_NS_16tensor_operation12element_wise11PassThroughES9_S9_LNS7_6device18GemmSpecializationE0ELi256ELi256ELi256ELi128ELi16ELi32ELi16ELi16ELi8ELi8ENS_8SequenceIJLi8ELi32ELi1EEEENSC_IJLi1ELi0ELi2EEEESE_Li2ELi16ELi16ELb0ELi0ENSC_IJLi4ELi64ELi1EEEESE_SE_Li2ELi32ELi32ELb0ELi0ELi1ELi1ENSC_IJLi1ELi32ELi1ELi8EEEELi4ELNS_26BlockGemmPipelineSchedulerE0ELNS_24BlockGemmPipelineVersionE2ES5_S5_Lb0ELb0ELi0EE5NWaveE@rel32@hi+12
	s_load_dword s20, s[14:15], 0x0
	s_lshr_b32 s14, s19, 27
	s_add_i32 s16, s16, s14
	s_ashr_i32 s19, s16, 5
	s_add_i32 s16, s19, -1
	s_lshl_b32 s15, s17, 12
	s_waitcnt lgkmcnt(0)
	s_add_i32 s21, s20, -1
	s_lshl_b32 s14, s17, 11
	s_mul_i32 s16, s16, s15
	s_mul_i32 s21, s21, s14
	s_add_i32 s22, s14, 0xfffff800
	s_bitset1_b32 s16, 11
	v_mov_b32_e32 v6, s12
	v_mov_b32_e32 v8, v7
	;; [unrolled: 1-line block ×3, first 2 shown]
	s_ashr_i32 s17, s21, 31
	s_ashr_i32 s23, s22, 31
	;; [unrolled: 1-line block ×3, first 2 shown]
	scratch_store_dwordx3 off, v[6:8], off offset:3216
	scratch_store_byte off, v4, off offset:3228
	scratch_store_dwordx2 off, v[0:1], off offset:3232
	v_mov_b64_e32 v[0:1], s[4:5]
	s_add_u32 s16, s16, s22
	scratch_store_dwordx2 off, v[0:1], off offset:3240
	v_mov_b32_e32 v0, s19
	v_mov_b32_e32 v1, s20
	;; [unrolled: 1-line block ×3, first 2 shown]
	s_addc_u32 s22, s25, s23
	s_mul_i32 s19, s14, s19
	scratch_store_dwordx4 off, v[0:3], off offset:3248
	s_add_u32 s16, s16, s21
	s_mul_i32 s19, s19, s20
	v_mov_b32_e32 v0, s15
	v_mov_b32_e32 v1, s14
	;; [unrolled: 1-line block ×3, first 2 shown]
	s_addc_u32 s17, s22, s17
	scratch_store_dwordx3 off, v[0:2], off offset:3264
	v_mov_b32_e32 v3, s5
	s_mov_b32 s0, 0
	v_mov_b32_e32 v0, s19
	scratch_store_dword off, v0, off offset:3280
	v_mov_b64_e32 v[0:1], s[16:17]
	scratch_store_dwordx2 off, v[0:1], off offset:3288
	v_mov_b32_e32 v0, s18
	v_mov_b32_e32 v1, s2
	;; [unrolled: 1-line block ×3, first 2 shown]
	scratch_store_dwordx4 off, v[0:3], off
	scratch_store_byte off, v4, off offset:16
	s_cmpk_lt_u32 s13, 0x100
	v_mov_b32_e32 v0, s6
	v_mov_b32_e32 v1, s7
	;; [unrolled: 1-line block ×4, first 2 shown]
	scratch_store_dwordx4 off, v[0:3], off offset:24
	scratch_store_byte off, v4, off offset:40
	s_cbranch_scc1 .LBB6_6
; %bb.3:
	s_add_i32 s2, s29, -1
	s_cmpk_lt_u32 s2, 0x100
	s_mov_b32 s2, 0
	s_cbranch_scc1 .LBB6_10
; %bb.4:
	s_add_i32 s2, s28, 0xff
	s_ashr_i32 s4, s2, 31
	s_lshr_b32 s4, s4, 24
	s_add_i32 s2, s2, s4
	s_ashr_i32 s6, s2, 8
	s_add_i32 s2, s29, 0xff
	s_ashr_i32 s4, s2, 31
	s_lshr_b32 s4, s4, 24
	s_add_i32 s2, s2, s4
	s_ashr_i32 s2, s2, 8
	s_mul_i32 s4, s2, s6
	s_add_i32 s5, s4, 7
	s_ashr_i32 s7, s5, 31
	s_lshr_b32 s7, s7, 29
	s_add_i32 s5, s5, s7
	s_ashr_i32 s7, s5, 3
	s_and_b32 s5, s5, -8
	s_sub_i32 s16, s4, s5
	s_ashr_i32 s4, s24, 31
	s_lshr_b32 s4, s4, 29
	s_add_i32 s19, s24, s4
	s_and_b32 s4, s19, -8
	s_add_i32 s16, s16, 8
	s_sub_i32 s18, s24, s4
	s_cmp_gt_i32 s18, s16
	s_cbranch_scc1 .LBB6_7
; %bb.5:
	s_mul_i32 s17, s7, s18
	s_ashr_i32 s4, s19, 3
	s_cbranch_execz .LBB6_8
	s_branch .LBB6_9
.LBB6_6:
	s_mov_b32 s25, 0
	s_branch .LBB6_11
.LBB6_7:
                                        ; implicit-def: $sgpr17
	s_ashr_i32 s4, s19, 3
.LBB6_8:
	s_add_i32 s5, s7, -1
	s_mul_i32 s5, s5, s18
	s_add_i32 s17, s16, s5
.LBB6_9:
	s_abs_i32 s5, s2
	v_cvt_f32_u32_e32 v0, s5
	s_add_i32 s4, s17, s4
	s_sub_i32 s17, 0, s5
	s_abs_i32 s16, s4
	v_rcp_iflag_f32_e32 v0, v0
	s_xor_b32 s7, s4, s2
	s_ashr_i32 s7, s7, 31
	v_mul_f32_e32 v0, 0x4f7ffffe, v0
	v_cvt_u32_f32_e32 v0, v0
	s_nop 0
	v_readfirstlane_b32 s18, v0
	s_mul_i32 s17, s17, s18
	s_mul_hi_u32 s17, s18, s17
	s_add_i32 s18, s18, s17
	s_mul_hi_u32 s17, s16, s18
	s_mul_i32 s18, s17, s5
	s_sub_i32 s16, s16, s18
	s_add_i32 s19, s17, 1
	s_sub_i32 s18, s16, s5
	s_cmp_ge_u32 s16, s5
	s_cselect_b32 s17, s19, s17
	s_cselect_b32 s16, s18, s16
	s_add_i32 s18, s17, 1
	s_cmp_ge_u32 s16, s5
	s_cselect_b32 s5, s18, s17
	s_xor_b32 s5, s5, s7
	s_lshr_b32 s16, s6, 30
	s_sub_i32 s5, s5, s7
	s_add_i32 s16, s6, s16
	s_mul_i32 s7, s5, s2
	s_sub_i32 s4, s4, s7
	s_and_b32 s7, s16, -4
	s_sub_i32 s6, s6, s7
	s_cmp_ge_i32 s5, s7
	s_cselect_b32 s6, s6, 4
	s_abs_i32 s16, s6
	v_cvt_f32_u32_e32 v0, s16
	s_ashr_i32 s7, s5, 31
	s_lshr_b32 s7, s7, 30
	s_add_i32 s7, s5, s7
	v_rcp_iflag_f32_e32 v0, v0
	s_and_b32 s7, s7, -4
	s_sub_i32 s7, s5, s7
	s_sub_i32 s18, 0, s16
	v_mul_f32_e32 v0, 0x4f7ffffe, v0
	v_cvt_u32_f32_e32 v0, v0
	s_mul_i32 s2, s7, s2
	s_add_i32 s4, s2, s4
	s_abs_i32 s17, s4
	v_readfirstlane_b32 s19, v0
	s_mul_i32 s18, s18, s19
	s_mul_hi_u32 s18, s19, s18
	s_add_i32 s19, s19, s18
	s_mul_hi_u32 s18, s17, s19
	s_mul_i32 s19, s18, s16
	s_xor_b32 s2, s4, s6
	s_sub_i32 s17, s17, s19
	s_ashr_i32 s2, s2, 31
	s_add_i32 s19, s18, 1
	s_sub_i32 s20, s17, s16
	s_cmp_ge_u32 s17, s16
	s_cselect_b32 s18, s19, s18
	s_cselect_b32 s17, s20, s17
	s_add_i32 s19, s18, 1
	s_cmp_ge_u32 s17, s16
	s_cselect_b32 s16, s19, s18
	s_xor_b32 s16, s16, s2
	s_sub_i32 s2, s16, s2
	s_mul_i32 s6, s2, s6
	s_sub_i32 s4, s4, s6
	s_add_i32 s4, s4, s5
	s_sub_i32 s24, s4, s7
.LBB6_10:
	s_mov_b32 s25, s24
	s_mov_b32 s24, s2
.LBB6_11:
	s_addk_i32 s1, 0x7f
	s_ashr_i32 s2, s1, 31
	s_lshr_b32 s2, s2, 25
	s_add_i32 s1, s1, s2
	s_ashr_i32 s4, s1, 7
	s_mov_b32 s1, s0
	s_mul_i32 s4, s4, s3
	s_mov_b32 s2, s0
	s_mov_b32 s3, s0
	v_mov_b64_e32 v[0:1], s[0:1]
	v_mov_b64_e32 v[2:3], s[2:3]
	scratch_store_short off, v4, off offset:176
	scratch_store_dwordx4 off, v[0:3], off offset:160
	scratch_store_dwordx4 off, v[0:3], off offset:144
	;; [unrolled: 1-line block ×8, first 2 shown]
	scratch_store_short off, v4, off offset:320
	scratch_store_dwordx4 off, v[0:3], off offset:192
	scratch_store_dwordx4 off, v[0:3], off offset:208
	;; [unrolled: 1-line block ×8, first 2 shown]
	scratch_store_byte off, v4, off offset:464
	scratch_store_dwordx4 off, v[0:3], off offset:448
	scratch_store_dwordx4 off, v[0:3], off offset:432
	;; [unrolled: 1-line block ×16, first 2 shown]
	scratch_store_byte off, v4, off offset:594
	scratch_store_short off, v4, off offset:736
	scratch_store_dwordx4 off, v[0:3], off offset:720
	scratch_store_dwordx4 off, v[0:3], off offset:704
	scratch_store_dwordx4 off, v[0:3], off offset:688
	scratch_store_dwordx4 off, v[0:3], off offset:672
	scratch_store_dwordx4 off, v[0:3], off offset:656
	scratch_store_dwordx4 off, v[0:3], off offset:640
	scratch_store_dwordx4 off, v[0:3], off offset:624
	scratch_store_dwordx4 off, v[0:3], off offset:608
	v_and_b32_e32 v9, 0x3f8, v11
	v_lshl_or_b32 v5, s25, 8, v9
	v_and_b32_e32 v3, 7, v11
	v_lshlrev_b32_e32 v2, 4, v3
	v_mad_u64_u32 v[0:1], s[0:1], v5, s31, v[2:3]
	s_lshl_b32 s5, s24, 3
	v_mov_b32_e32 v1, v5
	v_lshl_or_b32 v6, v9, 7, v2
	s_mov_b64 s[6:7], src_shared_base
	scratch_store_dwordx4 off, v[0:3], off offset:752
	scratch_store_dwordx3 off, v[4:6], off offset:768
	v_mov_b32_e32 v8, v3
	v_mov_b32_e32 v10, v4
	;; [unrolled: 1-line block ×7, first 2 shown]
	s_getpc_b64 s[0:1]
	s_add_u32 s0, s0, __const._ZN2ck41GridwiseGemm_xdl_cshuffle_v3_b_preshuffleINS_13tensor_layout4gemm8RowMajorENS2_11ColumnMajorES3_NS_9f8_fnuz_tENS_7pk_i4_tEfDF16_DF16_NS_16tensor_operation12element_wise11PassThroughES9_S9_LNS7_6device18GemmSpecializationE0ELi256ELi256ELi256ELi128ELi16ELi32ELi16ELi16ELi8ELi8ENS_8SequenceIJLi8ELi32ELi1EEEENSC_IJLi1ELi0ELi2EEEESE_Li2ELi16ELi16ELb0ELi0ENSC_IJLi4ELi64ELi1EEEESE_SE_Li2ELi32ELi32ELb0ELi0ELi1ELi1ENSC_IJLi1ELi32ELi1ELi8EEEELi4ELNS_26BlockGemmPipelineSchedulerE0ELNS_24BlockGemmPipelineVersionE2ES5_S5_Lb0ELb0ELi0EE8Run_2LdsIKNS_16TensorDescriptorINS_5TupleIJNS_5EmbedINSM_IJiiEEENSM_IJiNS_17integral_constantIiLi1EEEEEELb0EEENS_7UnMergeISO_Lb0EEENS_11PassThroughIiEEEEENSM_IJNSC_IJLi0EEEENSC_IJLi2EEEENSC_IJLi1EEEEEEENSM_IJNSC_IJLi1ELi2EEEENSC_IJLi3ELi4EEEENSC_IJLi5EEEEEEENSC_IJLi3ELi5ELi4EEEElEEKNSL_INSM_IJNSN_INSM_IJiiiiEEENSM_IJiiiSQ_EEELb0EEEEEENSM_IJSY_EEENSM_IJNSC_IJLi1ELi2ELi3ELi4EEEEEEES1E_lEEKNSL_INSM_IJSS_NS_8RightPadIiiLb0EEES1J_NST_INSM_IJiNSP_IiLi256EEEEEELb0EEES1M_EEENSM_IJSY_S10_SZ_NSC_IJLi3EEEENSC_IJLi4EEEEEEENSM_IJS12_S1O_S1P_NSC_IJLi5ELi6EEEENSC_IJLi7ELi8EEEEEEENSC_IJLi5ELi6ELi7ELi8EEEElEELb1ELNS_25InMemoryDataOperationEnumE0ELNS_10TailNumberE1EEEvPKS5_PKS6_PDF16_PvS24_RKNSJ_7ProblemERKT_RKT0_RKT1_i.a_block_slice_copy_step@rel32@lo+4
	s_addc_u32 s1, s1, __const._ZN2ck41GridwiseGemm_xdl_cshuffle_v3_b_preshuffleINS_13tensor_layout4gemm8RowMajorENS2_11ColumnMajorES3_NS_9f8_fnuz_tENS_7pk_i4_tEfDF16_DF16_NS_16tensor_operation12element_wise11PassThroughES9_S9_LNS7_6device18GemmSpecializationE0ELi256ELi256ELi256ELi128ELi16ELi32ELi16ELi16ELi8ELi8ENS_8SequenceIJLi8ELi32ELi1EEEENSC_IJLi1ELi0ELi2EEEESE_Li2ELi16ELi16ELb0ELi0ENSC_IJLi4ELi64ELi1EEEESE_SE_Li2ELi32ELi32ELb0ELi0ELi1ELi1ENSC_IJLi1ELi32ELi1ELi8EEEELi4ELNS_26BlockGemmPipelineSchedulerE0ELNS_24BlockGemmPipelineVersionE2ES5_S5_Lb0ELb0ELi0EE8Run_2LdsIKNS_16TensorDescriptorINS_5TupleIJNS_5EmbedINSM_IJiiEEENSM_IJiNS_17integral_constantIiLi1EEEEEELb0EEENS_7UnMergeISO_Lb0EEENS_11PassThroughIiEEEEENSM_IJNSC_IJLi0EEEENSC_IJLi2EEEENSC_IJLi1EEEEEEENSM_IJNSC_IJLi1ELi2EEEENSC_IJLi3ELi4EEEENSC_IJLi5EEEEEEENSC_IJLi3ELi5ELi4EEEElEEKNSL_INSM_IJNSN_INSM_IJiiiiEEENSM_IJiiiSQ_EEELb0EEEEEENSM_IJSY_EEENSM_IJNSC_IJLi1ELi2ELi3ELi4EEEEEEES1E_lEEKNSL_INSM_IJSS_NS_8RightPadIiiLb0EEES1J_NST_INSM_IJiNSP_IiLi256EEEEEELb0EEES1M_EEENSM_IJSY_S10_SZ_NSC_IJLi3EEEENSC_IJLi4EEEEEEENSM_IJS12_S1O_S1P_NSC_IJLi5ELi6EEEENSC_IJLi7ELi8EEEEEEENSC_IJLi5ELi6ELi7ELi8EEEElEELb1ELNS_25InMemoryDataOperationEnumE0ELNS_10TailNumberE1EEEvPKS5_PKS6_PDF16_PvS24_RKNSJ_7ProblemERKT_RKT0_RKT1_i.a_block_slice_copy_step@rel32@hi+12
	scratch_store_dwordx3 off, v[8:10], off offset:780
	scratch_store_dwordx4 off, v[0:3], off offset:792
	scratch_store_dwordx3 off, v[4:6], off offset:808
	scratch_store_dwordx3 off, v[8:10], off offset:820
	v_mov_b32_e32 v7, s7
	v_mov_b32_e32 v5, s7
	s_load_dwordx2 s[6:7], s[0:1], 0x0
	s_getpc_b64 s[16:17]
	s_add_u32 s16, s16, __const._ZN2ck41GridwiseGemm_xdl_cshuffle_v3_b_preshuffleINS_13tensor_layout4gemm8RowMajorENS2_11ColumnMajorES3_NS_9f8_fnuz_tENS_7pk_i4_tEfDF16_DF16_NS_16tensor_operation12element_wise11PassThroughES9_S9_LNS7_6device18GemmSpecializationE0ELi256ELi256ELi256ELi128ELi16ELi32ELi16ELi16ELi8ELi8ENS_8SequenceIJLi8ELi32ELi1EEEENSC_IJLi1ELi0ELi2EEEESE_Li2ELi16ELi16ELb0ELi0ENSC_IJLi4ELi64ELi1EEEESE_SE_Li2ELi32ELi32ELb0ELi0ELi1ELi1ENSC_IJLi1ELi32ELi1ELi8EEEELi4ELNS_26BlockGemmPipelineSchedulerE0ELNS_24BlockGemmPipelineVersionE2ES5_S5_Lb0ELb0ELi0EE8Run_2LdsIKNS_16TensorDescriptorINS_5TupleIJNS_5EmbedINSM_IJiiEEENSM_IJiNS_17integral_constantIiLi1EEEEEELb0EEENS_7UnMergeISO_Lb0EEENS_11PassThroughIiEEEEENSM_IJNSC_IJLi0EEEENSC_IJLi2EEEENSC_IJLi1EEEEEEENSM_IJNSC_IJLi1ELi2EEEENSC_IJLi3ELi4EEEENSC_IJLi5EEEEEEENSC_IJLi3ELi5ELi4EEEElEEKNSL_INSM_IJNSN_INSM_IJiiiiEEENSM_IJiiiSQ_EEELb0EEEEEENSM_IJSY_EEENSM_IJNSC_IJLi1ELi2ELi3ELi4EEEEEEES1E_lEEKNSL_INSM_IJSS_NS_8RightPadIiiLb0EEES1J_NST_INSM_IJiNSP_IiLi256EEEEEELb0EEES1M_EEENSM_IJSY_S10_SZ_NSC_IJLi3EEEENSC_IJLi4EEEEEEENSM_IJS12_S1O_S1P_NSC_IJLi5ELi6EEEENSC_IJLi7ELi8EEEEEEENSC_IJLi5ELi6ELi7ELi8EEEElEELb1ELNS_25InMemoryDataOperationEnumE0ELNS_10TailNumberE1EEEvPKS5_PKS6_PDF16_PvS24_RKNSJ_7ProblemERKT_RKT0_RKT1_i.b_block_slice_copy_step@rel32@lo+4
	s_addc_u32 s17, s17, __const._ZN2ck41GridwiseGemm_xdl_cshuffle_v3_b_preshuffleINS_13tensor_layout4gemm8RowMajorENS2_11ColumnMajorES3_NS_9f8_fnuz_tENS_7pk_i4_tEfDF16_DF16_NS_16tensor_operation12element_wise11PassThroughES9_S9_LNS7_6device18GemmSpecializationE0ELi256ELi256ELi256ELi128ELi16ELi32ELi16ELi16ELi8ELi8ENS_8SequenceIJLi8ELi32ELi1EEEENSC_IJLi1ELi0ELi2EEEESE_Li2ELi16ELi16ELb0ELi0ENSC_IJLi4ELi64ELi1EEEESE_SE_Li2ELi32ELi32ELb0ELi0ELi1ELi1ENSC_IJLi1ELi32ELi1ELi8EEEELi4ELNS_26BlockGemmPipelineSchedulerE0ELNS_24BlockGemmPipelineVersionE2ES5_S5_Lb0ELb0ELi0EE8Run_2LdsIKNS_16TensorDescriptorINS_5TupleIJNS_5EmbedINSM_IJiiEEENSM_IJiNS_17integral_constantIiLi1EEEEEELb0EEENS_7UnMergeISO_Lb0EEENS_11PassThroughIiEEEEENSM_IJNSC_IJLi0EEEENSC_IJLi2EEEENSC_IJLi1EEEEEEENSM_IJNSC_IJLi1ELi2EEEENSC_IJLi3ELi4EEEENSC_IJLi5EEEEEEENSC_IJLi3ELi5ELi4EEEElEEKNSL_INSM_IJNSN_INSM_IJiiiiEEENSM_IJiiiSQ_EEELb0EEEEEENSM_IJSY_EEENSM_IJNSC_IJLi1ELi2ELi3ELi4EEEEEEES1E_lEEKNSL_INSM_IJSS_NS_8RightPadIiiLb0EEES1J_NST_INSM_IJiNSP_IiLi256EEEEEELb0EEES1M_EEENSM_IJSY_S10_SZ_NSC_IJLi3EEEENSC_IJLi4EEEEEEENSM_IJS12_S1O_S1P_NSC_IJLi5ELi6EEEENSC_IJLi7ELi8EEEEEEENSC_IJLi5ELi6ELi7ELi8EEEElEELb1ELNS_25InMemoryDataOperationEnumE0ELNS_10TailNumberE1EEEvPKS5_PKS6_PDF16_PvS24_RKNSJ_7ProblemERKT_RKT0_RKT1_i.b_block_slice_copy_step@rel32@hi+12
	s_load_dwordx4 s[0:3], s[16:17], 0x0
	v_lshlrev_b32_e32 v0, 5, v11
	v_and_b32_e32 v1, 0x7e0, v0
	v_mov_b32_e32 v0, s5
	scratch_store_dword off, v0, off offset:852
	v_mov_b32_e32 v0, s4
	v_mov_b32_e32 v6, 0x8000
	scratch_store_dwordx2 off, v[0:1], off offset:860
	scratch_store_dwordx2 off, v[4:5], off offset:872
	scratch_store_byte off, v4, off offset:881
	scratch_store_dwordx2 off, v[6:7], off offset:888
	scratch_store_byte off, v4, off offset:897
	s_waitcnt lgkmcnt(0)
	v_mov_b64_e32 v[6:7], s[6:7]
	scratch_store_dwordx2 off, v[6:7], off offset:904
	v_mov_b64_e32 v[8:9], s[2:3]
	v_mov_b32_e32 v0, 0
	v_mov_b64_e32 v[6:7], s[0:1]
	s_mov_b32 s0, 1
	scratch_store_dword off, v0, off offset:912
	scratch_store_dwordx4 off, v[6:9], off offset:916
.LBB6_12:                               ; =>This Inner Loop Header: Depth=1
	s_add_i32 s1, s0, 0x3b0
	s_add_i32 s1, s1, -1
	scratch_store_byte off, v4, s1
	s_add_i32 s1, s0, 1
	s_cmpk_lt_u32 s0, 0x4d0
	s_mov_b32 s0, s1
	s_cbranch_scc1 .LBB6_12
; %bb.13:
	s_mov_b64 s[0:1], src_private_base
	s_lshl_b64 s[2:3], s[10:11], 1
	v_lshrrev_b32_e32 v0, 6, v11
	s_add_u32 s36, s8, s2
	s_mul_i32 s0, s13, s26
	s_mul_hi_u32 s33, 0, s26
	v_lshlrev_b32_e32 v2, 1, v11
	v_and_b32_e32 v0, 1, v0
	s_addc_u32 s27, s9, s3
	s_add_i32 s33, s33, s0
	s_mul_i32 s0, s5, s15
	s_lshl_b32 s2, s4, 11
	v_and_b32_e32 v15, 0x60, v2
	v_mul_lo_u32 v2, s14, v0
	v_lshrrev_b32_e32 v12, 7, v11
	v_and_b32_e32 v13, 15, v11
	v_or_b32_e32 v1, v2, v1
	s_add_i32 s0, s0, s2
	v_lshrrev_b32_e32 v9, 4, v15
	v_add_u32_e32 v1, s0, v1
	v_lshl_or_b32 v6, v12, 4, v13
	v_xor_b32_e32 v5, v9, v3
	scratch_store_dword off, v9, off offset:1996
	scratch_store_dword off, v15, off offset:2024
	;; [unrolled: 1-line block ×5, first 2 shown]
	v_lshlrev_b32_e32 v1, 7, v6
	v_lshl_or_b32 v4, v5, 4, v1
	scratch_store_dwordx3 off, v[4:6], off offset:1968
	v_mov_b32_e32 v8, v6
	v_lshl_or_b32 v2, v0, 4, v13
	v_mov_b32_e32 v4, v9
	v_mov_b32_e32 v5, v6
	v_bfe_u32 v7, v11, 4, 2
	scratch_store_dwordx2 off, v[8:9], off offset:1984
	scratch_store_dword off, v6, off offset:2004
	scratch_store_dwordx2 off, v[4:5], off offset:2012
	v_or_b32_e32 v4, v2, v15
	v_lshlrev_b32_e32 v5, 1, v7
	v_lshlrev_b32_e32 v14, 5, v4
	v_xor_b32_e32 v3, v5, v3
	scratch_store_dwordx4 off, v[12:15], off offset:2032
	scratch_store_dword off, v2, off offset:2048
	v_lshl_or_b32 v2, v3, 4, v1
	v_mov_b32_e32 v1, v13
	s_mov_b32 s4, 0
	s_ashr_i32 s0, s12, 31
	scratch_store_dwordx4 off, v[0:3], off offset:2068
	scratch_store_dword off, v6, off offset:2084
	v_mov_b32_e32 v4, v6
	v_mov_b32_e32 v0, v5
	;; [unrolled: 1-line block ×3, first 2 shown]
	s_mov_b32 s5, s4
	s_lshr_b32 s0, s0, 29
	v_lshlrev_b32_e32 v8, 5, v7
	scratch_store_dwordx2 off, v[4:5], off offset:2092
	scratch_store_dword off, v5, off offset:2104
	scratch_store_dword off, v6, off offset:2112
	scratch_store_dwordx2 off, v[0:1], off offset:2120
	scratch_store_dword off, v8, off offset:2132
	scratch_store_dwordx2 off, v[12:13], off offset:2140
	scratch_store_dwordx2 off, v[12:13], off offset:2152
	s_mov_b32 s6, s4
	s_mov_b32 s7, s4
	v_mov_b64_e32 v[0:1], s[4:5]
	s_add_i32 s12, s12, s0
	v_mov_b64_e32 v[2:3], s[6:7]
	s_ashr_i32 s0, s12, 3
	v_accvgpr_write_b32 a55, v13
	scratch_store_dword off, v7, off offset:2164
	scratch_store_dwordx4 off, v[0:3], off offset:3184
	scratch_store_dwordx4 off, v[0:3], off offset:3168
	;; [unrolled: 1-line block ×64, first 2 shown]
	s_getpc_b64 s[2:3]
	s_add_u32 s2, s2, _ZNK2ck52BlockwiseGemmXdlops_pipeline_bpreshuffle_bdequant_v3ILNS_26BlockGemmPipelineSchedulerE0ELi256ENS_9f8_fnuz_tENS_7pk_i4_tES2_fNS_16TensorDescriptorINS_5TupleIJNS_5EmbedINS5_IJNS_17integral_constantIiLi8EEENS7_IiLi256EEENS7_IiLi16EEEEEENS5_IJSA_NS7_IiLi128EEENS7_IiLi1EEEEEELb0EEENS_3XorINS5_IJS9_S8_EEELb1EEENS_11PassThroughISA_EENS_7UnMergeINS5_IJS8_SD_EEELb0EEENSJ_IS9_EESK_NSJ_IS8_EENS_21Merge_v3_division_modINS5_IJS9_SD_EEEEESK_EEENS5_IJNS_8SequenceIJLi0EEEENSU_IJLi2ELi1EEEENSU_IJLi3EEEENSU_IJLi5EEEENSU_IJLi4EEEENSU_IJLi6EEEENSU_IJLi7EEEENSU_IJLi9ELi8EEEENSU_IJLi10EEEEEEENS5_IJNSU_IJLi1ELi2ELi3EEEENSU_IJLi4ELi5EEEES10_NSU_IJLi7ELi8EEEENSU_IJLi9EEEES13_NSU_IJLi11EEEENSU_IJLi12EEEENSU_IJLi13EEEEEEENSU_IJLi11ELi12ELi13EEEENS7_IlLl32768EEEEENS4_INS5_IJNSL_INS5_IJS8_SD_SD_NS7_IiLi32EEEEEELb0EEEEEENS5_IJSV_EEENS5_IJNSU_IJLi1ELi2ELi3ELi4EEEEEEES1L_NS7_IlLl256EEEEENS4_INS5_IJSF_SI_SK_SN_SO_SK_SP_SS_SK_NSQ_INS5_IJS8_SA_EEEEENSL_INS5_IJS8_NS7_IiLi2EEESA_EEELb0EEEEEENS5_IJSV_SW_SX_SY_SZ_S10_S11_S12_S13_NSU_IJLi11ELi13EEEES1A_EEENS5_IJS15_S16_S10_S17_S18_S13_S19_S1A_S1B_NSU_IJLi14EEEENSU_IJLi15ELi16ELi17EEEEEEENSU_IJLi15ELi16ELi17ELi14EEEES1E_EENS4_INS5_IJS1I_NSQ_ISM_EES1T_EEENS5_IJSV_NSU_IJLi1ELi3EEEENSU_IJLi2EEEEEEENS5_IJS1L_SY_NSU_IJLi6ELi7ELi8EEEEEEENSU_IJLi6ELi7ELi8ELi5EEEES1N_EELi16ELi32ELi256ELi256ELi128ELi16ELi16ELi8ELi8ELi32ELb0EE3RunILb1ELNS_10TailNumberE1ENS4_INS5_IJNS6_INS5_IJiiEEENS5_IJiSD_EEELb0EEENSL_IS2E_Lb0EEENSJ_IiEEEEENS5_IJSV_S25_NSU_IJLi1EEEEEEENS5_IJNSU_IJLi1ELi2EEEENSU_IJLi3ELi4EEEESY_EEENSU_IJLi3ELi5ELi4EEEElEES1F_NS_35ThreadGroupTensorSliceTransfer_v4r1INS_15ThisThreadBlockILi256EEENS_16tensor_operation12element_wise11PassThroughES2W_LNS_25InMemoryDataOperationEnumE0ENSU_IJLi8ELi256ELi16EEEENSU_IJLi8ELi32ELi1EEEENSU_IJLi1ELi0ELi2EEEES2_S2_RKS2Q_KS1F_S30_NSU_IJLi0ELi1ELi2EEEELi2ELi2ELi16ELi16ELi1ELi1ELb0ELb1ELi2EiEENS_13DynamicBufferILNS_16AddressSpaceEnumE1EKS2_lLb1ELNS_22AmdBufferCoherenceEnumE0EiEENS5_IJNS36_ILS37_2ES2_S1E_Lb1ELS39_0EiEES3B_EEENS5_IJiiiEEENS4_INS5_IJNS6_INS5_IJiiiiEEENS5_IJiiiSD_EEELb0EEEEEES1K_S1M_S1L_lEENS_32ThreadwiseTensorSliceTransfer_v2IS3_S3_RKS3I_KS1O_NSU_IJLi8ELi1ELi1ELi32EEEENSU_IJLi1ELi2ELi0ELi3EEEELi3ELi32ELi0ELb1ELb0ELb0EEENS36_ILS37_1EKS3_lLb1ELS39_0EiEENS5_IJNS_12StaticBufferILS37_4ES3_Li256ELb1EEES3T_EEES3E_NS_25StaticBufferTupleOfVectorILS37_4EfLi64ELi4ELb1ELb0EEEEEvRKT1_RKT2_RT3_RKT4_RT5_RKT6_RKT7_RT8_RKT9_RT10_RKT11_RT12_i@rel32@lo+4
	s_addc_u32 s3, s3, _ZNK2ck52BlockwiseGemmXdlops_pipeline_bpreshuffle_bdequant_v3ILNS_26BlockGemmPipelineSchedulerE0ELi256ENS_9f8_fnuz_tENS_7pk_i4_tES2_fNS_16TensorDescriptorINS_5TupleIJNS_5EmbedINS5_IJNS_17integral_constantIiLi8EEENS7_IiLi256EEENS7_IiLi16EEEEEENS5_IJSA_NS7_IiLi128EEENS7_IiLi1EEEEEELb0EEENS_3XorINS5_IJS9_S8_EEELb1EEENS_11PassThroughISA_EENS_7UnMergeINS5_IJS8_SD_EEELb0EEENSJ_IS9_EESK_NSJ_IS8_EENS_21Merge_v3_division_modINS5_IJS9_SD_EEEEESK_EEENS5_IJNS_8SequenceIJLi0EEEENSU_IJLi2ELi1EEEENSU_IJLi3EEEENSU_IJLi5EEEENSU_IJLi4EEEENSU_IJLi6EEEENSU_IJLi7EEEENSU_IJLi9ELi8EEEENSU_IJLi10EEEEEEENS5_IJNSU_IJLi1ELi2ELi3EEEENSU_IJLi4ELi5EEEES10_NSU_IJLi7ELi8EEEENSU_IJLi9EEEES13_NSU_IJLi11EEEENSU_IJLi12EEEENSU_IJLi13EEEEEEENSU_IJLi11ELi12ELi13EEEENS7_IlLl32768EEEEENS4_INS5_IJNSL_INS5_IJS8_SD_SD_NS7_IiLi32EEEEEELb0EEEEEENS5_IJSV_EEENS5_IJNSU_IJLi1ELi2ELi3ELi4EEEEEEES1L_NS7_IlLl256EEEEENS4_INS5_IJSF_SI_SK_SN_SO_SK_SP_SS_SK_NSQ_INS5_IJS8_SA_EEEEENSL_INS5_IJS8_NS7_IiLi2EEESA_EEELb0EEEEEENS5_IJSV_SW_SX_SY_SZ_S10_S11_S12_S13_NSU_IJLi11ELi13EEEES1A_EEENS5_IJS15_S16_S10_S17_S18_S13_S19_S1A_S1B_NSU_IJLi14EEEENSU_IJLi15ELi16ELi17EEEEEEENSU_IJLi15ELi16ELi17ELi14EEEES1E_EENS4_INS5_IJS1I_NSQ_ISM_EES1T_EEENS5_IJSV_NSU_IJLi1ELi3EEEENSU_IJLi2EEEEEEENS5_IJS1L_SY_NSU_IJLi6ELi7ELi8EEEEEEENSU_IJLi6ELi7ELi8ELi5EEEES1N_EELi16ELi32ELi256ELi256ELi128ELi16ELi16ELi8ELi8ELi32ELb0EE3RunILb1ELNS_10TailNumberE1ENS4_INS5_IJNS6_INS5_IJiiEEENS5_IJiSD_EEELb0EEENSL_IS2E_Lb0EEENSJ_IiEEEEENS5_IJSV_S25_NSU_IJLi1EEEEEEENS5_IJNSU_IJLi1ELi2EEEENSU_IJLi3ELi4EEEESY_EEENSU_IJLi3ELi5ELi4EEEElEES1F_NS_35ThreadGroupTensorSliceTransfer_v4r1INS_15ThisThreadBlockILi256EEENS_16tensor_operation12element_wise11PassThroughES2W_LNS_25InMemoryDataOperationEnumE0ENSU_IJLi8ELi256ELi16EEEENSU_IJLi8ELi32ELi1EEEENSU_IJLi1ELi0ELi2EEEES2_S2_RKS2Q_KS1F_S30_NSU_IJLi0ELi1ELi2EEEELi2ELi2ELi16ELi16ELi1ELi1ELb0ELb1ELi2EiEENS_13DynamicBufferILNS_16AddressSpaceEnumE1EKS2_lLb1ELNS_22AmdBufferCoherenceEnumE0EiEENS5_IJNS36_ILS37_2ES2_S1E_Lb1ELS39_0EiEES3B_EEENS5_IJiiiEEENS4_INS5_IJNS6_INS5_IJiiiiEEENS5_IJiiiSD_EEELb0EEEEEES1K_S1M_S1L_lEENS_32ThreadwiseTensorSliceTransfer_v2IS3_S3_RKS3I_KS1O_NSU_IJLi8ELi1ELi1ELi32EEEENSU_IJLi1ELi2ELi0ELi3EEEELi3ELi32ELi0ELb1ELb0ELb0EEENS36_ILS37_1EKS3_lLb1ELS39_0EiEENS5_IJNS_12StaticBufferILS37_4ES3_Li256ELb1EEES3T_EEES3E_NS_25StaticBufferTupleOfVectorILS37_4EfLi64ELi4ELb1ELb0EEEEEvRKT1_RKT2_RT3_RKT4_RT5_RKT6_RKT7_RT8_RKT9_RT10_RKT11_RT12_i@rel32@hi+12
	v_mov_b32_e32 v0, 0x3b0
	v_mov_b32_e32 v1, s1
	;; [unrolled: 1-line block ×11, first 2 shown]
	v_accvgpr_write_b32 a54, v11
	v_mov_b32_e32 v11, s1
	v_mov_b32_e32 v12, 0xcb0
	;; [unrolled: 1-line block ×12, first 2 shown]
	s_swappc_b64 s[30:31], s[2:3]
	s_waitcnt lgkmcnt(0)
	s_barrier
	scratch_load_dwordx4 v[6:9], off, off offset:2176
	v_accvgpr_read_b32 v2, a54
	v_lshrrev_b32_e32 v0, 2, v2
	v_lshlrev_b32_e32 v1, 2, v2
	v_lshrrev_b32_e32 v3, 3, v2
	v_accvgpr_read_b32 v11, a55
	v_and_b32_e32 v0, 12, v0
	v_and_b32_e32 v1, 28, v1
	v_lshrrev_b32_e32 v5, 1, v2
	v_lshlrev_b32_e32 v11, 1, v11
	s_add_i32 s0, s29, s33
	v_lshl_or_b32 v4, s25, 8, v3
	v_and_or_b32 v12, v3, 16, v0
	v_lshl_or_b32 v10, s24, 8, v1
	v_and_b32_e32 v5, 32, v5
	s_lshl_b32 s38, s0, 1
	v_lshlrev_b32_e32 v13, 1, v1
	v_mad_u64_u32 v[0:1], s[0:1], v4, s26, v[10:11]
	v_lshlrev_b32_e32 v12, 6, v12
	v_lshl_or_b32 v1, v3, 6, v13
	v_or3_b32 v3, v5, v12, v11
	v_cmp_gt_i32_e64 s[14:15], s28, v4
	v_cmp_gt_i32_e32 vcc, s29, v10
	v_bfrev_b32_e32 v2, 1
	s_and_b64 s[0:1], s[14:15], vcc
	s_and_b32 s37, s27, 0xffff
	s_mov_b32 s39, 0x20000
	v_or_b32_e32 v11, 32, v10
	s_lshl_b32 s18, s26, 5
	s_waitcnt vmcnt(0)
	v_cvt_f16_f32_e32 v5, v6
	v_cvt_f16_f32_e32 v6, v7
	;; [unrolled: 1-line block ×4, first 2 shown]
	ds_write_b16 v3, v5
	ds_write_b16 v3, v6 offset:64
	ds_write_b16 v3, v7 offset:128
	;; [unrolled: 1-line block ×3, first 2 shown]
	s_waitcnt lgkmcnt(0)
	s_barrier
	ds_read_b64 v[6:7], v1
	v_lshlrev_b32_e32 v5, 1, v0
	v_cndmask_b32_e64 v8, v2, 0, s[0:1]
	v_add_u32_e32 v8, v8, v5
	v_cmp_gt_i32_e64 s[0:1], s29, v11
	s_waitcnt lgkmcnt(0)
	buffer_store_dwordx2 v[6:7], v8, s[36:39], 0 offen
	s_waitcnt lgkmcnt(0)
	s_barrier
	scratch_load_dwordx4 v[6:9], off, off offset:2192
	s_and_b64 s[2:3], s[14:15], s[0:1]
	v_or_b32_e32 v11, 64, v10
	s_waitcnt vmcnt(0)
	v_cvt_f16_f32_e32 v6, v6
	v_cvt_f16_f32_e32 v7, v7
	v_cvt_f16_f32_e32 v8, v8
	v_cvt_f16_f32_e32 v9, v9
	ds_write_b16 v3, v6
	ds_write_b16 v3, v7 offset:64
	ds_write_b16 v3, v8 offset:128
	ds_write_b16 v3, v9 offset:192
	s_waitcnt lgkmcnt(0)
	s_barrier
	ds_read_b64 v[6:7], v1
	v_cndmask_b32_e64 v8, v2, 0, s[2:3]
	v_add_u32_e32 v8, v5, v8
	v_cmp_gt_i32_e64 s[2:3], s29, v11
	s_and_b64 s[4:5], s[14:15], s[2:3]
	s_waitcnt lgkmcnt(0)
	buffer_store_dwordx2 v[6:7], v8, s[36:39], 0 offen offset:64
	s_waitcnt lgkmcnt(0)
	s_barrier
	scratch_load_dwordx4 v[6:9], off, off offset:2208
	v_or_b32_e32 v11, 0x60, v10
	s_waitcnt vmcnt(0)
	v_cvt_f16_f32_e32 v6, v6
	v_cvt_f16_f32_e32 v7, v7
	v_cvt_f16_f32_e32 v8, v8
	v_cvt_f16_f32_e32 v9, v9
	ds_write_b16 v3, v6
	ds_write_b16 v3, v7 offset:64
	ds_write_b16 v3, v8 offset:128
	ds_write_b16 v3, v9 offset:192
	s_waitcnt lgkmcnt(0)
	s_barrier
	ds_read_b64 v[6:7], v1
	v_cndmask_b32_e64 v8, v2, 0, s[4:5]
	v_add_u32_e32 v8, v5, v8
	v_cmp_gt_i32_e64 s[4:5], s29, v11
	s_and_b64 s[6:7], s[14:15], s[4:5]
	s_waitcnt lgkmcnt(0)
	buffer_store_dwordx2 v[6:7], v8, s[36:39], 0 offen offset:128
	s_waitcnt lgkmcnt(0)
	s_barrier
	scratch_load_dwordx4 v[6:9], off, off offset:2224
	v_or_b32_e32 v11, 0x80, v10
	s_waitcnt vmcnt(0)
	v_cvt_f16_f32_e32 v6, v6
	v_cvt_f16_f32_e32 v7, v7
	v_cvt_f16_f32_e32 v8, v8
	v_cvt_f16_f32_e32 v9, v9
	ds_write_b16 v3, v6
	ds_write_b16 v3, v7 offset:64
	ds_write_b16 v3, v8 offset:128
	ds_write_b16 v3, v9 offset:192
	s_waitcnt lgkmcnt(0)
	s_barrier
	ds_read_b64 v[6:7], v1
	v_cndmask_b32_e64 v8, v2, 0, s[6:7]
	v_add_u32_e32 v8, v5, v8
	v_cmp_gt_i32_e64 s[6:7], s29, v11
	s_and_b64 s[8:9], s[14:15], s[6:7]
	s_waitcnt lgkmcnt(0)
	buffer_store_dwordx2 v[6:7], v8, s[36:39], 0 offen offset:192
	s_waitcnt lgkmcnt(0)
	s_barrier
	scratch_load_dwordx4 v[6:9], off, off offset:2240
	v_or_b32_e32 v11, 0xa0, v10
	s_waitcnt vmcnt(0)
	v_cvt_f16_f32_e32 v6, v6
	v_cvt_f16_f32_e32 v7, v7
	v_cvt_f16_f32_e32 v8, v8
	v_cvt_f16_f32_e32 v9, v9
	ds_write_b16 v3, v6
	ds_write_b16 v3, v7 offset:64
	ds_write_b16 v3, v8 offset:128
	ds_write_b16 v3, v9 offset:192
	s_waitcnt lgkmcnt(0)
	s_barrier
	ds_read_b64 v[6:7], v1
	v_cndmask_b32_e64 v8, v2, 0, s[8:9]
	v_add_u32_e32 v8, v5, v8
	v_cmp_gt_i32_e64 s[8:9], s29, v11
	s_and_b64 s[10:11], s[14:15], s[8:9]
	s_waitcnt lgkmcnt(0)
	buffer_store_dwordx2 v[6:7], v8, s[36:39], 0 offen offset:256
	s_waitcnt lgkmcnt(0)
	s_barrier
	scratch_load_dwordx4 v[6:9], off, off offset:2256
	v_or_b32_e32 v11, 0xc0, v10
	s_waitcnt vmcnt(0)
	v_cvt_f16_f32_e32 v6, v6
	v_cvt_f16_f32_e32 v7, v7
	v_cvt_f16_f32_e32 v8, v8
	v_cvt_f16_f32_e32 v9, v9
	ds_write_b16 v3, v6
	ds_write_b16 v3, v7 offset:64
	ds_write_b16 v3, v8 offset:128
	ds_write_b16 v3, v9 offset:192
	s_waitcnt lgkmcnt(0)
	s_barrier
	ds_read_b64 v[6:7], v1
	v_cndmask_b32_e64 v8, v2, 0, s[10:11]
	v_add_u32_e32 v8, v5, v8
	v_cmp_gt_i32_e64 s[10:11], s29, v11
	s_and_b64 s[12:13], s[14:15], s[10:11]
	s_waitcnt lgkmcnt(0)
	buffer_store_dwordx2 v[6:7], v8, s[36:39], 0 offen offset:320
	s_waitcnt lgkmcnt(0)
	s_barrier
	scratch_load_dwordx4 v[6:9], off, off offset:2272
	s_waitcnt vmcnt(0)
	v_cvt_f16_f32_e32 v6, v6
	v_cvt_f16_f32_e32 v7, v7
	;; [unrolled: 1-line block ×4, first 2 shown]
	ds_write_b16 v3, v6
	ds_write_b16 v3, v7 offset:64
	ds_write_b16 v3, v8 offset:128
	;; [unrolled: 1-line block ×3, first 2 shown]
	s_waitcnt lgkmcnt(0)
	s_barrier
	ds_read_b64 v[6:7], v1
	v_cndmask_b32_e64 v8, v2, 0, s[12:13]
	v_add_u32_e32 v5, v5, v8
	s_waitcnt lgkmcnt(0)
	buffer_store_dwordx2 v[6:7], v5, s[36:39], 0 offen offset:384
	s_waitcnt lgkmcnt(0)
	s_barrier
	scratch_load_dwordx4 v[6:9], off, off offset:2288
	v_or_b32_e32 v5, 0xe0, v10
	v_cmp_gt_i32_e64 s[12:13], s29, v5
	s_and_b64 s[14:15], s[14:15], s[12:13]
	v_add_u32_e32 v10, 0xe0, v0
	v_cndmask_b32_e64 v5, v2, 0, s[14:15]
	v_lshl_add_u32 v5, v10, 1, v5
	v_add_lshl_u32 v20, v10, s18, 1
	v_add_u32_e32 v0, s18, v0
	v_add_u32_e32 v32, s18, v0
	v_lshlrev_b32_e32 v30, 1, v32
	v_add_u32_e32 v33, 0xe0, v32
	v_add_u32_e32 v32, s18, v32
	s_waitcnt vmcnt(0)
	v_cvt_f16_f32_e32 v6, v6
	v_cvt_f16_f32_e32 v7, v7
	;; [unrolled: 1-line block ×4, first 2 shown]
	ds_write_b16 v3, v6
	ds_write_b16 v3, v7 offset:64
	ds_write_b16 v3, v8 offset:128
	;; [unrolled: 1-line block ×3, first 2 shown]
	s_waitcnt lgkmcnt(0)
	s_barrier
	ds_read_b64 v[6:7], v1
	s_waitcnt lgkmcnt(0)
	buffer_store_dwordx2 v[6:7], v5, s[36:39], 0 offen
	s_waitcnt lgkmcnt(0)
	s_barrier
	scratch_load_dwordx4 v[6:9], off, off offset:2416
	v_or_b32_e32 v5, 32, v4
	v_cmp_gt_i32_e64 s[14:15], s28, v5
	s_and_b64 s[16:17], s[14:15], s[12:13]
	s_waitcnt vmcnt(0)
	v_cvt_f16_f32_e32 v5, v6
	v_cvt_f16_f32_e32 v6, v7
	;; [unrolled: 1-line block ×4, first 2 shown]
	ds_write_b16 v3, v5
	ds_write_b16 v3, v6 offset:64
	ds_write_b16 v3, v7 offset:128
	;; [unrolled: 1-line block ×3, first 2 shown]
	s_waitcnt lgkmcnt(0)
	s_barrier
	ds_read_b64 v[6:7], v1
	v_cndmask_b32_e64 v5, v2, 0, s[16:17]
	v_add_u32_e32 v5, v20, v5
	s_and_b64 s[16:17], s[14:15], s[10:11]
	s_waitcnt lgkmcnt(0)
	buffer_store_dwordx2 v[6:7], v5, s[36:39], 0 offen
	s_waitcnt lgkmcnt(0)
	s_barrier
	scratch_load_dwordx4 v[6:9], off, off offset:2400
	v_mov_b32_e32 v5, 0x7fffffc0
	s_waitcnt vmcnt(0)
	v_cvt_f16_f32_e32 v6, v6
	v_cvt_f16_f32_e32 v7, v7
	;; [unrolled: 1-line block ×4, first 2 shown]
	ds_write_b16 v3, v6
	ds_write_b16 v3, v7 offset:64
	ds_write_b16 v3, v8 offset:128
	;; [unrolled: 1-line block ×3, first 2 shown]
	s_waitcnt lgkmcnt(0)
	s_barrier
	ds_read_b64 v[8:9], v1
	v_not_b32_e32 v7, 63
	v_cndmask_b32_e64 v6, v5, v7, s[16:17]
	v_add_u32_e32 v6, v20, v6
	s_and_b64 s[16:17], s[14:15], s[8:9]
	s_waitcnt lgkmcnt(0)
	buffer_store_dwordx2 v[8:9], v6, s[36:39], 0 offen
	s_waitcnt lgkmcnt(0)
	s_barrier
	scratch_load_dwordx4 v[8:11], off, off offset:2384
	v_mov_b32_e32 v6, 0x7fffff80
	s_waitcnt vmcnt(0)
	v_cvt_f16_f32_e32 v8, v8
	v_cvt_f16_f32_e32 v9, v9
	v_cvt_f16_f32_e32 v10, v10
	v_cvt_f16_f32_e32 v11, v11
	ds_write_b16 v3, v8
	ds_write_b16 v3, v9 offset:64
	ds_write_b16 v3, v10 offset:128
	ds_write_b16 v3, v11 offset:192
	s_waitcnt lgkmcnt(0)
	s_barrier
	ds_read_b64 v[10:11], v1
	v_mov_b32_e32 v9, 0xffffff80
	v_cndmask_b32_e64 v8, v6, v9, s[16:17]
	v_add_u32_e32 v8, v20, v8
	s_and_b64 s[16:17], s[14:15], s[6:7]
	s_waitcnt lgkmcnt(0)
	buffer_store_dwordx2 v[10:11], v8, s[36:39], 0 offen
	s_waitcnt lgkmcnt(0)
	s_barrier
	scratch_load_dwordx4 v[10:13], off, off offset:2368
	v_mov_b32_e32 v8, 0x7fffff40
	s_waitcnt vmcnt(0)
	v_cvt_f16_f32_e32 v10, v10
	v_cvt_f16_f32_e32 v11, v11
	v_cvt_f16_f32_e32 v12, v12
	v_cvt_f16_f32_e32 v13, v13
	ds_write_b16 v3, v10
	ds_write_b16 v3, v11 offset:64
	ds_write_b16 v3, v12 offset:128
	ds_write_b16 v3, v13 offset:192
	s_waitcnt lgkmcnt(0)
	s_barrier
	ds_read_b64 v[12:13], v1
	v_mov_b32_e32 v11, 0xffffff40
	;; [unrolled: 22-line block ×4, first 2 shown]
	v_cndmask_b32_e64 v14, v12, v15, s[16:17]
	v_add_u32_e32 v14, v20, v14
	s_and_b64 s[16:17], s[14:15], s[0:1]
	s_waitcnt lgkmcnt(0)
	buffer_store_dwordx2 v[16:17], v14, s[36:39], 0 offen
	s_waitcnt lgkmcnt(0)
	s_barrier
	scratch_load_dwordx4 v[16:19], off, off offset:2320
	v_mov_b32_e32 v14, 0x7ffffe80
	s_and_b64 s[14:15], vcc, s[14:15]
	s_waitcnt vmcnt(0)
	v_cvt_f16_f32_e32 v16, v16
	v_cvt_f16_f32_e32 v17, v17
	v_cvt_f16_f32_e32 v18, v18
	v_cvt_f16_f32_e32 v19, v19
	ds_write_b16 v3, v16
	ds_write_b16 v3, v17 offset:64
	ds_write_b16 v3, v18 offset:128
	;; [unrolled: 1-line block ×3, first 2 shown]
	s_waitcnt lgkmcnt(0)
	s_barrier
	ds_read_b64 v[18:19], v1
	v_mov_b32_e32 v16, 0xfffffe80
	v_cndmask_b32_e64 v17, v14, v16, s[16:17]
	v_add_u32_e32 v17, v20, v17
	s_waitcnt lgkmcnt(0)
	buffer_store_dwordx2 v[18:19], v17, s[36:39], 0 offen
	s_waitcnt lgkmcnt(0)
	s_barrier
	scratch_load_dwordx4 v[18:21], off, off offset:2304
	s_waitcnt vmcnt(0)
	v_cvt_f16_f32_e32 v17, v18
	v_cvt_f16_f32_e32 v18, v19
	;; [unrolled: 1-line block ×4, first 2 shown]
	ds_write_b16 v3, v17
	ds_write_b16 v3, v18 offset:64
	ds_write_b16 v3, v19 offset:128
	;; [unrolled: 1-line block ×3, first 2 shown]
	s_waitcnt lgkmcnt(0)
	s_barrier
	ds_read_b64 v[18:19], v1
	v_cndmask_b32_e64 v17, v2, 0, s[14:15]
	v_lshl_add_u32 v17, v0, 1, v17
	s_waitcnt lgkmcnt(0)
	buffer_store_dwordx2 v[18:19], v17, s[36:39], 0 offen
	s_waitcnt lgkmcnt(0)
	s_barrier
	scratch_load_dwordx4 v[18:21], off, off offset:2432
	v_or_b32_e32 v17, 64, v4
	v_cmp_gt_i32_e64 s[14:15], s28, v17
	s_and_b64 s[16:17], vcc, s[14:15]
	s_waitcnt vmcnt(0)
	v_cvt_f16_f32_e32 v17, v18
	v_cvt_f16_f32_e32 v18, v19
	v_cvt_f16_f32_e32 v19, v20
	v_cvt_f16_f32_e32 v20, v21
	ds_write_b16 v3, v17
	ds_write_b16 v3, v18 offset:64
	ds_write_b16 v3, v19 offset:128
	;; [unrolled: 1-line block ×3, first 2 shown]
	s_waitcnt lgkmcnt(0)
	s_barrier
	ds_read_b64 v[18:19], v1
	v_cndmask_b32_e64 v17, v2, 0, s[16:17]
	v_add_u32_e32 v0, v30, v17
	s_and_b64 s[16:17], s[14:15], s[0:1]
	s_waitcnt lgkmcnt(0)
	buffer_store_dwordx2 v[18:19], v0, s[36:39], 0 offen
	s_waitcnt lgkmcnt(0)
	s_barrier
	scratch_load_dwordx4 v[18:21], off, off offset:2448
	s_waitcnt vmcnt(0)
	v_cvt_f16_f32_e32 v0, v18
	v_cvt_f16_f32_e32 v17, v19
	v_cvt_f16_f32_e32 v18, v20
	v_cvt_f16_f32_e32 v19, v21
	ds_write_b16 v3, v0
	ds_write_b16 v3, v17 offset:64
	ds_write_b16 v3, v18 offset:128
	ds_write_b16 v3, v19 offset:192
	s_waitcnt lgkmcnt(0)
	s_barrier
	ds_read_b64 v[18:19], v1
	v_mov_b32_e32 v17, 0x80000040
	v_cndmask_b32_e64 v0, v17, 64, s[16:17]
	v_add_u32_e32 v0, v30, v0
	s_and_b64 s[16:17], s[14:15], s[2:3]
	s_waitcnt lgkmcnt(0)
	buffer_store_dwordx2 v[18:19], v0, s[36:39], 0 offen
	s_waitcnt lgkmcnt(0)
	s_barrier
	scratch_load_dwordx4 v[18:21], off, off offset:2464
	v_mov_b32_e32 v0, 0x80000080
	s_waitcnt vmcnt(0)
	v_cvt_f16_f32_e32 v18, v18
	v_cvt_f16_f32_e32 v19, v19
	v_cvt_f16_f32_e32 v20, v20
	v_cvt_f16_f32_e32 v21, v21
	ds_write_b16 v3, v18
	ds_write_b16 v3, v19 offset:64
	ds_write_b16 v3, v20 offset:128
	ds_write_b16 v3, v21 offset:192
	s_waitcnt lgkmcnt(0)
	s_barrier
	ds_read_b64 v[20:21], v1
	v_mov_b32_e32 v19, 0x80
	v_cndmask_b32_e64 v18, v0, v19, s[16:17]
	v_add_u32_e32 v18, v30, v18
	s_and_b64 s[16:17], s[14:15], s[4:5]
	s_waitcnt lgkmcnt(0)
	buffer_store_dwordx2 v[20:21], v18, s[36:39], 0 offen
	s_waitcnt lgkmcnt(0)
	s_barrier
	scratch_load_dwordx4 v[20:23], off, off offset:2480
	v_mov_b32_e32 v18, 0x800000c0
	;; [unrolled: 22-line block ×5, first 2 shown]
	s_and_b64 s[14:15], s[14:15], s[12:13]
	s_waitcnt vmcnt(0)
	v_cvt_f16_f32_e32 v26, v26
	v_cvt_f16_f32_e32 v27, v27
	;; [unrolled: 1-line block ×4, first 2 shown]
	ds_write_b16 v3, v26
	ds_write_b16 v3, v27 offset:64
	ds_write_b16 v3, v28 offset:128
	;; [unrolled: 1-line block ×3, first 2 shown]
	s_waitcnt lgkmcnt(0)
	s_barrier
	ds_read_b64 v[28:29], v1
	v_mov_b32_e32 v26, 0x180
	v_cndmask_b32_e64 v27, v24, v26, s[16:17]
	v_add_u32_e32 v27, v30, v27
	s_waitcnt lgkmcnt(0)
	buffer_store_dwordx2 v[28:29], v27, s[36:39], 0 offen
	s_waitcnt lgkmcnt(0)
	s_barrier
	scratch_load_dwordx4 v[28:31], off, off offset:2544
	s_waitcnt vmcnt(0)
	v_cvt_f16_f32_e32 v27, v28
	v_cvt_f16_f32_e32 v28, v29
	;; [unrolled: 1-line block ×4, first 2 shown]
	ds_write_b16 v3, v27
	ds_write_b16 v3, v28 offset:64
	ds_write_b16 v3, v29 offset:128
	;; [unrolled: 1-line block ×3, first 2 shown]
	s_waitcnt lgkmcnt(0)
	s_barrier
	ds_read_b64 v[28:29], v1
	v_cndmask_b32_e64 v27, v2, 0, s[14:15]
	v_lshl_add_u32 v27, v33, 1, v27
	v_add_lshl_u32 v33, v33, s18, 1
	s_waitcnt lgkmcnt(0)
	buffer_store_dwordx2 v[28:29], v27, s[36:39], 0 offen
	s_waitcnt lgkmcnt(0)
	s_barrier
	scratch_load_dwordx4 v[28:31], off, off offset:2672
	v_or_b32_e32 v27, 0x60, v4
	v_cmp_gt_i32_e64 s[14:15], s28, v27
	s_and_b64 s[16:17], s[14:15], s[12:13]
	s_waitcnt vmcnt(0)
	v_cvt_f16_f32_e32 v27, v28
	v_cvt_f16_f32_e32 v28, v29
	v_cvt_f16_f32_e32 v29, v30
	v_cvt_f16_f32_e32 v30, v31
	ds_write_b16 v3, v27
	ds_write_b16 v3, v28 offset:64
	ds_write_b16 v3, v29 offset:128
	ds_write_b16 v3, v30 offset:192
	s_waitcnt lgkmcnt(0)
	s_barrier
	ds_read_b64 v[28:29], v1
	v_cndmask_b32_e64 v27, v2, 0, s[16:17]
	v_add_u32_e32 v27, v33, v27
	s_and_b64 s[16:17], s[14:15], s[10:11]
	s_waitcnt lgkmcnt(0)
	buffer_store_dwordx2 v[28:29], v27, s[36:39], 0 offen
	s_waitcnt lgkmcnt(0)
	s_barrier
	scratch_load_dwordx4 v[28:31], off, off offset:2656
	s_waitcnt vmcnt(0)
	v_cvt_f16_f32_e32 v27, v28
	v_cvt_f16_f32_e32 v28, v29
	v_cvt_f16_f32_e32 v29, v30
	v_cvt_f16_f32_e32 v30, v31
	ds_write_b16 v3, v27
	ds_write_b16 v3, v28 offset:64
	ds_write_b16 v3, v29 offset:128
	ds_write_b16 v3, v30 offset:192
	s_waitcnt lgkmcnt(0)
	s_barrier
	ds_read_b64 v[28:29], v1
	v_cndmask_b32_e64 v27, v5, v7, s[16:17]
	v_add_u32_e32 v27, v33, v27
	s_and_b64 s[16:17], s[14:15], s[8:9]
	s_waitcnt lgkmcnt(0)
	buffer_store_dwordx2 v[28:29], v27, s[36:39], 0 offen
	s_waitcnt lgkmcnt(0)
	s_barrier
	scratch_load_dwordx4 v[28:31], off, off offset:2640
	;; [unrolled: 20-line block ×5, first 2 shown]
	s_waitcnt vmcnt(0)
	v_cvt_f16_f32_e32 v27, v28
	v_cvt_f16_f32_e32 v28, v29
	;; [unrolled: 1-line block ×4, first 2 shown]
	ds_write_b16 v3, v27
	ds_write_b16 v3, v28 offset:64
	ds_write_b16 v3, v29 offset:128
	;; [unrolled: 1-line block ×3, first 2 shown]
	s_waitcnt lgkmcnt(0)
	s_barrier
	ds_read_b64 v[28:29], v1
	v_cndmask_b32_e64 v27, v12, v15, s[16:17]
	v_add_u32_e32 v27, v33, v27
	s_and_b64 s[16:17], s[14:15], s[0:1]
	s_and_b64 s[14:15], vcc, s[14:15]
	s_waitcnt lgkmcnt(0)
	buffer_store_dwordx2 v[28:29], v27, s[36:39], 0 offen
	s_waitcnt lgkmcnt(0)
	s_barrier
	scratch_load_dwordx4 v[28:31], off, off offset:2576
	s_waitcnt vmcnt(0)
	v_cvt_f16_f32_e32 v27, v28
	v_cvt_f16_f32_e32 v28, v29
	;; [unrolled: 1-line block ×4, first 2 shown]
	ds_write_b16 v3, v27
	ds_write_b16 v3, v28 offset:64
	ds_write_b16 v3, v29 offset:128
	;; [unrolled: 1-line block ×3, first 2 shown]
	s_waitcnt lgkmcnt(0)
	s_barrier
	ds_read_b64 v[28:29], v1
	v_cndmask_b32_e64 v27, v14, v16, s[16:17]
	v_add_u32_e32 v27, v33, v27
	s_waitcnt lgkmcnt(0)
	buffer_store_dwordx2 v[28:29], v27, s[36:39], 0 offen
	s_waitcnt lgkmcnt(0)
	s_barrier
	scratch_load_dwordx4 v[28:31], off, off offset:2560
	s_waitcnt vmcnt(0)
	v_cvt_f16_f32_e32 v27, v28
	v_cvt_f16_f32_e32 v28, v29
	;; [unrolled: 1-line block ×4, first 2 shown]
	ds_write_b16 v3, v27
	ds_write_b16 v3, v28 offset:64
	ds_write_b16 v3, v29 offset:128
	;; [unrolled: 1-line block ×3, first 2 shown]
	s_waitcnt lgkmcnt(0)
	s_barrier
	ds_read_b64 v[28:29], v1
	v_cndmask_b32_e64 v27, v2, 0, s[14:15]
	v_lshl_add_u32 v27, v32, 1, v27
	v_add_u32_e32 v32, s18, v32
	v_lshlrev_b32_e32 v33, 1, v32
	s_waitcnt lgkmcnt(0)
	buffer_store_dwordx2 v[28:29], v27, s[36:39], 0 offen
	s_waitcnt lgkmcnt(0)
	s_barrier
	scratch_load_dwordx4 v[28:31], off, off offset:2688
	v_or_b32_e32 v27, 0x80, v4
	v_cmp_gt_i32_e64 s[14:15], s28, v27
	s_and_b64 s[16:17], vcc, s[14:15]
	s_waitcnt vmcnt(0)
	v_cvt_f16_f32_e32 v27, v28
	v_cvt_f16_f32_e32 v28, v29
	v_cvt_f16_f32_e32 v29, v30
	v_cvt_f16_f32_e32 v30, v31
	ds_write_b16 v3, v27
	ds_write_b16 v3, v28 offset:64
	ds_write_b16 v3, v29 offset:128
	ds_write_b16 v3, v30 offset:192
	s_waitcnt lgkmcnt(0)
	s_barrier
	ds_read_b64 v[28:29], v1
	v_cndmask_b32_e64 v27, v2, 0, s[16:17]
	v_add_u32_e32 v27, v33, v27
	s_and_b64 s[16:17], s[14:15], s[0:1]
	s_waitcnt lgkmcnt(0)
	buffer_store_dwordx2 v[28:29], v27, s[36:39], 0 offen
	s_waitcnt lgkmcnt(0)
	s_barrier
	scratch_load_dwordx4 v[28:31], off, off offset:2704
	s_waitcnt vmcnt(0)
	v_cvt_f16_f32_e32 v27, v28
	v_cvt_f16_f32_e32 v28, v29
	v_cvt_f16_f32_e32 v29, v30
	v_cvt_f16_f32_e32 v30, v31
	ds_write_b16 v3, v27
	ds_write_b16 v3, v28 offset:64
	ds_write_b16 v3, v29 offset:128
	ds_write_b16 v3, v30 offset:192
	s_waitcnt lgkmcnt(0)
	s_barrier
	ds_read_b64 v[28:29], v1
	v_cndmask_b32_e64 v27, v17, 64, s[16:17]
	v_add_u32_e32 v27, v33, v27
	s_and_b64 s[16:17], s[14:15], s[2:3]
	s_waitcnt lgkmcnt(0)
	buffer_store_dwordx2 v[28:29], v27, s[36:39], 0 offen
	s_waitcnt lgkmcnt(0)
	s_barrier
	scratch_load_dwordx4 v[28:31], off, off offset:2720
	s_waitcnt vmcnt(0)
	v_cvt_f16_f32_e32 v27, v28
	v_cvt_f16_f32_e32 v28, v29
	v_cvt_f16_f32_e32 v29, v30
	v_cvt_f16_f32_e32 v30, v31
	ds_write_b16 v3, v27
	ds_write_b16 v3, v28 offset:64
	ds_write_b16 v3, v29 offset:128
	ds_write_b16 v3, v30 offset:192
	s_waitcnt lgkmcnt(0)
	s_barrier
	ds_read_b64 v[28:29], v1
	v_cndmask_b32_e64 v27, v0, v19, s[16:17]
	v_add_u32_e32 v27, v33, v27
	s_and_b64 s[16:17], s[14:15], s[4:5]
	s_waitcnt lgkmcnt(0)
	buffer_store_dwordx2 v[28:29], v27, s[36:39], 0 offen
	s_waitcnt lgkmcnt(0)
	s_barrier
	scratch_load_dwordx4 v[28:31], off, off offset:2736
	s_waitcnt vmcnt(0)
	v_cvt_f16_f32_e32 v27, v28
	v_cvt_f16_f32_e32 v28, v29
	v_cvt_f16_f32_e32 v29, v30
	v_cvt_f16_f32_e32 v30, v31
	ds_write_b16 v3, v27
	ds_write_b16 v3, v28 offset:64
	ds_write_b16 v3, v29 offset:128
	ds_write_b16 v3, v30 offset:192
	s_waitcnt lgkmcnt(0)
	s_barrier
	ds_read_b64 v[28:29], v1
	v_cndmask_b32_e64 v27, v18, v21, s[16:17]
	v_add_u32_e32 v27, v33, v27
	s_and_b64 s[16:17], s[14:15], s[6:7]
	s_waitcnt lgkmcnt(0)
	buffer_store_dwordx2 v[28:29], v27, s[36:39], 0 offen
	s_waitcnt lgkmcnt(0)
	s_barrier
	scratch_load_dwordx4 v[28:31], off, off offset:2752
	s_waitcnt vmcnt(0)
	v_cvt_f16_f32_e32 v27, v28
	v_cvt_f16_f32_e32 v28, v29
	v_cvt_f16_f32_e32 v29, v30
	v_cvt_f16_f32_e32 v30, v31
	ds_write_b16 v3, v27
	ds_write_b16 v3, v28 offset:64
	ds_write_b16 v3, v29 offset:128
	ds_write_b16 v3, v30 offset:192
	s_waitcnt lgkmcnt(0)
	s_barrier
	ds_read_b64 v[28:29], v1
	v_cndmask_b32_e64 v27, v20, v23, s[16:17]
	v_add_u32_e32 v27, v33, v27
	s_and_b64 s[16:17], s[14:15], s[8:9]
	s_waitcnt lgkmcnt(0)
	buffer_store_dwordx2 v[28:29], v27, s[36:39], 0 offen
	s_waitcnt lgkmcnt(0)
	s_barrier
	scratch_load_dwordx4 v[28:31], off, off offset:2768
	s_waitcnt vmcnt(0)
	v_cvt_f16_f32_e32 v27, v28
	v_cvt_f16_f32_e32 v28, v29
	;; [unrolled: 1-line block ×4, first 2 shown]
	ds_write_b16 v3, v27
	ds_write_b16 v3, v28 offset:64
	ds_write_b16 v3, v29 offset:128
	;; [unrolled: 1-line block ×3, first 2 shown]
	s_waitcnt lgkmcnt(0)
	s_barrier
	ds_read_b64 v[28:29], v1
	v_cndmask_b32_e64 v27, v22, v25, s[16:17]
	v_add_u32_e32 v27, v33, v27
	s_and_b64 s[16:17], s[14:15], s[10:11]
	s_and_b64 s[14:15], s[14:15], s[12:13]
	s_waitcnt lgkmcnt(0)
	buffer_store_dwordx2 v[28:29], v27, s[36:39], 0 offen
	s_waitcnt lgkmcnt(0)
	s_barrier
	scratch_load_dwordx4 v[28:31], off, off offset:2784
	s_waitcnt vmcnt(0)
	v_cvt_f16_f32_e32 v27, v28
	v_cvt_f16_f32_e32 v28, v29
	;; [unrolled: 1-line block ×4, first 2 shown]
	ds_write_b16 v3, v27
	ds_write_b16 v3, v28 offset:64
	ds_write_b16 v3, v29 offset:128
	;; [unrolled: 1-line block ×3, first 2 shown]
	s_waitcnt lgkmcnt(0)
	s_barrier
	ds_read_b64 v[28:29], v1
	v_cndmask_b32_e64 v27, v24, v26, s[16:17]
	v_add_u32_e32 v27, v33, v27
	v_add_u32_e32 v33, 0xe0, v32
	;; [unrolled: 1-line block ×3, first 2 shown]
	s_waitcnt lgkmcnt(0)
	buffer_store_dwordx2 v[28:29], v27, s[36:39], 0 offen
	s_waitcnt lgkmcnt(0)
	s_barrier
	scratch_load_dwordx4 v[28:31], off, off offset:2800
	s_waitcnt vmcnt(0)
	v_cvt_f16_f32_e32 v27, v28
	v_cvt_f16_f32_e32 v28, v29
	;; [unrolled: 1-line block ×4, first 2 shown]
	ds_write_b16 v3, v27
	ds_write_b16 v3, v28 offset:64
	ds_write_b16 v3, v29 offset:128
	;; [unrolled: 1-line block ×3, first 2 shown]
	s_waitcnt lgkmcnt(0)
	s_barrier
	ds_read_b64 v[28:29], v1
	v_cndmask_b32_e64 v27, v2, 0, s[14:15]
	v_lshl_add_u32 v27, v33, 1, v27
	v_add_lshl_u32 v33, v33, s18, 1
	s_waitcnt lgkmcnt(0)
	buffer_store_dwordx2 v[28:29], v27, s[36:39], 0 offen
	s_waitcnt lgkmcnt(0)
	s_barrier
	scratch_load_dwordx4 v[28:31], off, off offset:2928
	v_or_b32_e32 v27, 0xa0, v4
	v_cmp_gt_i32_e64 s[14:15], s28, v27
	s_and_b64 s[16:17], s[14:15], s[12:13]
	s_waitcnt vmcnt(0)
	v_cvt_f16_f32_e32 v27, v28
	v_cvt_f16_f32_e32 v28, v29
	v_cvt_f16_f32_e32 v29, v30
	v_cvt_f16_f32_e32 v30, v31
	ds_write_b16 v3, v27
	ds_write_b16 v3, v28 offset:64
	ds_write_b16 v3, v29 offset:128
	ds_write_b16 v3, v30 offset:192
	s_waitcnt lgkmcnt(0)
	s_barrier
	ds_read_b64 v[28:29], v1
	v_cndmask_b32_e64 v27, v2, 0, s[16:17]
	v_add_u32_e32 v27, v33, v27
	s_and_b64 s[16:17], s[14:15], s[10:11]
	s_waitcnt lgkmcnt(0)
	buffer_store_dwordx2 v[28:29], v27, s[36:39], 0 offen
	s_waitcnt lgkmcnt(0)
	s_barrier
	scratch_load_dwordx4 v[28:31], off, off offset:2912
	s_waitcnt vmcnt(0)
	v_cvt_f16_f32_e32 v27, v28
	v_cvt_f16_f32_e32 v28, v29
	v_cvt_f16_f32_e32 v29, v30
	v_cvt_f16_f32_e32 v30, v31
	ds_write_b16 v3, v27
	ds_write_b16 v3, v28 offset:64
	ds_write_b16 v3, v29 offset:128
	ds_write_b16 v3, v30 offset:192
	s_waitcnt lgkmcnt(0)
	s_barrier
	ds_read_b64 v[28:29], v1
	v_cndmask_b32_e64 v27, v5, v7, s[16:17]
	v_add_u32_e32 v27, v33, v27
	s_and_b64 s[16:17], s[14:15], s[8:9]
	s_waitcnt lgkmcnt(0)
	buffer_store_dwordx2 v[28:29], v27, s[36:39], 0 offen
	s_waitcnt lgkmcnt(0)
	s_barrier
	scratch_load_dwordx4 v[28:31], off, off offset:2896
	s_waitcnt vmcnt(0)
	v_cvt_f16_f32_e32 v27, v28
	v_cvt_f16_f32_e32 v28, v29
	v_cvt_f16_f32_e32 v29, v30
	v_cvt_f16_f32_e32 v30, v31
	ds_write_b16 v3, v27
	ds_write_b16 v3, v28 offset:64
	ds_write_b16 v3, v29 offset:128
	ds_write_b16 v3, v30 offset:192
	s_waitcnt lgkmcnt(0)
	s_barrier
	ds_read_b64 v[28:29], v1
	v_cndmask_b32_e64 v27, v6, v9, s[16:17]
	v_add_u32_e32 v27, v33, v27
	s_and_b64 s[16:17], s[14:15], s[6:7]
	s_waitcnt lgkmcnt(0)
	buffer_store_dwordx2 v[28:29], v27, s[36:39], 0 offen
	s_waitcnt lgkmcnt(0)
	s_barrier
	scratch_load_dwordx4 v[28:31], off, off offset:2880
	s_waitcnt vmcnt(0)
	v_cvt_f16_f32_e32 v27, v28
	v_cvt_f16_f32_e32 v28, v29
	v_cvt_f16_f32_e32 v29, v30
	v_cvt_f16_f32_e32 v30, v31
	ds_write_b16 v3, v27
	ds_write_b16 v3, v28 offset:64
	ds_write_b16 v3, v29 offset:128
	ds_write_b16 v3, v30 offset:192
	s_waitcnt lgkmcnt(0)
	s_barrier
	ds_read_b64 v[28:29], v1
	v_cndmask_b32_e64 v27, v8, v11, s[16:17]
	v_add_u32_e32 v27, v33, v27
	s_and_b64 s[16:17], s[14:15], s[4:5]
	s_waitcnt lgkmcnt(0)
	buffer_store_dwordx2 v[28:29], v27, s[36:39], 0 offen
	s_waitcnt lgkmcnt(0)
	s_barrier
	scratch_load_dwordx4 v[28:31], off, off offset:2864
	s_waitcnt vmcnt(0)
	v_cvt_f16_f32_e32 v27, v28
	v_cvt_f16_f32_e32 v28, v29
	v_cvt_f16_f32_e32 v29, v30
	v_cvt_f16_f32_e32 v30, v31
	ds_write_b16 v3, v27
	ds_write_b16 v3, v28 offset:64
	ds_write_b16 v3, v29 offset:128
	ds_write_b16 v3, v30 offset:192
	s_waitcnt lgkmcnt(0)
	s_barrier
	ds_read_b64 v[28:29], v1
	v_cndmask_b32_e64 v27, v10, v13, s[16:17]
	v_add_u32_e32 v27, v33, v27
	s_and_b64 s[16:17], s[14:15], s[2:3]
	s_waitcnt lgkmcnt(0)
	buffer_store_dwordx2 v[28:29], v27, s[36:39], 0 offen
	s_waitcnt lgkmcnt(0)
	s_barrier
	scratch_load_dwordx4 v[28:31], off, off offset:2848
	s_waitcnt vmcnt(0)
	v_cvt_f16_f32_e32 v27, v28
	v_cvt_f16_f32_e32 v28, v29
	;; [unrolled: 1-line block ×4, first 2 shown]
	ds_write_b16 v3, v27
	ds_write_b16 v3, v28 offset:64
	ds_write_b16 v3, v29 offset:128
	;; [unrolled: 1-line block ×3, first 2 shown]
	s_waitcnt lgkmcnt(0)
	s_barrier
	ds_read_b64 v[28:29], v1
	v_cndmask_b32_e64 v27, v12, v15, s[16:17]
	v_add_u32_e32 v27, v33, v27
	s_and_b64 s[16:17], s[14:15], s[0:1]
	s_and_b64 s[14:15], vcc, s[14:15]
	s_waitcnt lgkmcnt(0)
	buffer_store_dwordx2 v[28:29], v27, s[36:39], 0 offen
	s_waitcnt lgkmcnt(0)
	s_barrier
	scratch_load_dwordx4 v[28:31], off, off offset:2832
	s_waitcnt vmcnt(0)
	v_cvt_f16_f32_e32 v27, v28
	v_cvt_f16_f32_e32 v28, v29
	v_cvt_f16_f32_e32 v29, v30
	v_cvt_f16_f32_e32 v30, v31
	ds_write_b16 v3, v27
	ds_write_b16 v3, v28 offset:64
	ds_write_b16 v3, v29 offset:128
	;; [unrolled: 1-line block ×3, first 2 shown]
	s_waitcnt lgkmcnt(0)
	s_barrier
	ds_read_b64 v[28:29], v1
	v_cndmask_b32_e64 v27, v14, v16, s[16:17]
	v_add_u32_e32 v27, v33, v27
	s_waitcnt lgkmcnt(0)
	buffer_store_dwordx2 v[28:29], v27, s[36:39], 0 offen
	s_waitcnt lgkmcnt(0)
	s_barrier
	scratch_load_dwordx4 v[28:31], off, off offset:2816
	s_waitcnt vmcnt(0)
	v_cvt_f16_f32_e32 v27, v28
	v_cvt_f16_f32_e32 v28, v29
	;; [unrolled: 1-line block ×4, first 2 shown]
	ds_write_b16 v3, v27
	ds_write_b16 v3, v28 offset:64
	ds_write_b16 v3, v29 offset:128
	ds_write_b16 v3, v30 offset:192
	s_waitcnt lgkmcnt(0)
	s_barrier
	ds_read_b64 v[28:29], v1
	v_cndmask_b32_e64 v27, v2, 0, s[14:15]
	v_lshl_add_u32 v27, v32, 1, v27
	v_add_u32_e32 v32, s18, v32
	v_lshlrev_b32_e32 v33, 1, v32
	s_waitcnt lgkmcnt(0)
	buffer_store_dwordx2 v[28:29], v27, s[36:39], 0 offen
	s_waitcnt lgkmcnt(0)
	s_barrier
	scratch_load_dwordx4 v[28:31], off, off offset:2944
	v_or_b32_e32 v27, 0xc0, v4
	v_cmp_gt_i32_e64 s[14:15], s28, v27
	s_and_b64 s[16:17], vcc, s[14:15]
	s_waitcnt vmcnt(0)
	v_cvt_f16_f32_e32 v27, v28
	v_cvt_f16_f32_e32 v28, v29
	;; [unrolled: 1-line block ×4, first 2 shown]
	ds_write_b16 v3, v27
	ds_write_b16 v3, v28 offset:64
	ds_write_b16 v3, v29 offset:128
	;; [unrolled: 1-line block ×3, first 2 shown]
	s_waitcnt lgkmcnt(0)
	s_barrier
	ds_read_b64 v[28:29], v1
	v_cndmask_b32_e64 v27, v2, 0, s[16:17]
	v_add_u32_e32 v27, v33, v27
	s_and_b64 s[16:17], s[14:15], s[0:1]
	v_cndmask_b32_e64 v17, v17, 64, s[16:17]
	s_waitcnt lgkmcnt(0)
	buffer_store_dwordx2 v[28:29], v27, s[36:39], 0 offen
	s_waitcnt lgkmcnt(0)
	s_barrier
	scratch_load_dwordx4 v[28:31], off, off offset:2960
	v_add_u32_e32 v17, v33, v17
	s_and_b64 s[16:17], s[14:15], s[2:3]
	v_cndmask_b32_e64 v0, v0, v19, s[16:17]
	v_add_u32_e32 v0, v33, v0
	s_and_b64 s[16:17], s[14:15], s[4:5]
	s_waitcnt vmcnt(0)
	v_cvt_f16_f32_e32 v27, v28
	v_cvt_f16_f32_e32 v28, v29
	v_cvt_f16_f32_e32 v29, v30
	v_cvt_f16_f32_e32 v30, v31
	ds_write_b16 v3, v27
	ds_write_b16 v3, v28 offset:64
	ds_write_b16 v3, v29 offset:128
	;; [unrolled: 1-line block ×3, first 2 shown]
	s_waitcnt lgkmcnt(0)
	s_barrier
	ds_read_b64 v[28:29], v1
	s_waitcnt lgkmcnt(0)
	buffer_store_dwordx2 v[28:29], v17, s[36:39], 0 offen
	s_waitcnt lgkmcnt(0)
	s_barrier
	scratch_load_dwordx4 v[28:31], off, off offset:2976
	s_waitcnt vmcnt(0)
	v_cvt_f16_f32_e32 v17, v28
	v_cvt_f16_f32_e32 v27, v29
	;; [unrolled: 1-line block ×4, first 2 shown]
	ds_write_b16 v3, v17
	ds_write_b16 v3, v27 offset:64
	ds_write_b16 v3, v28 offset:128
	;; [unrolled: 1-line block ×3, first 2 shown]
	s_waitcnt lgkmcnt(0)
	s_barrier
	ds_read_b64 v[28:29], v1
	s_waitcnt lgkmcnt(0)
	buffer_store_dwordx2 v[28:29], v0, s[36:39], 0 offen
	s_waitcnt lgkmcnt(0)
	s_barrier
	scratch_load_dwordx4 v[28:31], off, off offset:2992
	s_waitcnt vmcnt(0)
	v_cvt_f16_f32_e32 v0, v28
	v_cvt_f16_f32_e32 v17, v29
	v_cvt_f16_f32_e32 v19, v30
	v_cvt_f16_f32_e32 v27, v31
	ds_write_b16 v3, v0
	ds_write_b16 v3, v17 offset:64
	ds_write_b16 v3, v19 offset:128
	ds_write_b16 v3, v27 offset:192
	s_waitcnt lgkmcnt(0)
	s_barrier
	ds_read_b64 v[28:29], v1
	v_cndmask_b32_e64 v0, v18, v21, s[16:17]
	v_add_u32_e32 v0, v33, v0
	s_and_b64 s[16:17], s[14:15], s[6:7]
	s_waitcnt lgkmcnt(0)
	buffer_store_dwordx2 v[28:29], v0, s[36:39], 0 offen
	s_waitcnt lgkmcnt(0)
	s_barrier
	scratch_load_dwordx4 v[28:31], off, off offset:3008
	s_waitcnt vmcnt(0)
	v_cvt_f16_f32_e32 v0, v28
	v_cvt_f16_f32_e32 v17, v29
	v_cvt_f16_f32_e32 v18, v30
	v_cvt_f16_f32_e32 v19, v31
	ds_write_b16 v3, v0
	ds_write_b16 v3, v17 offset:64
	ds_write_b16 v3, v18 offset:128
	ds_write_b16 v3, v19 offset:192
	s_waitcnt lgkmcnt(0)
	s_barrier
	ds_read_b64 v[18:19], v1
	v_cndmask_b32_e64 v0, v20, v23, s[16:17]
	v_add_u32_e32 v0, v33, v0
	s_and_b64 s[16:17], s[14:15], s[8:9]
	;; [unrolled: 20-line block ×3, first 2 shown]
	s_and_b64 s[14:15], s[14:15], s[12:13]
	s_waitcnt lgkmcnt(0)
	buffer_store_dwordx2 v[18:19], v0, s[36:39], 0 offen
	s_waitcnt lgkmcnt(0)
	s_barrier
	scratch_load_dwordx4 v[18:21], off, off offset:3040
	s_waitcnt vmcnt(0)
	v_cvt_f16_f32_e32 v0, v18
	v_cvt_f16_f32_e32 v17, v19
	;; [unrolled: 1-line block ×4, first 2 shown]
	ds_write_b16 v3, v0
	ds_write_b16 v3, v17 offset:64
	ds_write_b16 v3, v18 offset:128
	;; [unrolled: 1-line block ×3, first 2 shown]
	s_waitcnt lgkmcnt(0)
	s_barrier
	ds_read_b64 v[18:19], v1
	v_cndmask_b32_e64 v0, v24, v26, s[16:17]
	v_add_u32_e32 v0, v33, v0
	s_waitcnt lgkmcnt(0)
	buffer_store_dwordx2 v[18:19], v0, s[36:39], 0 offen
	s_waitcnt lgkmcnt(0)
	s_barrier
	scratch_load_dwordx4 v[18:21], off, off offset:3056
	s_waitcnt vmcnt(0)
	v_cvt_f16_f32_e32 v0, v18
	v_cvt_f16_f32_e32 v17, v19
	v_cvt_f16_f32_e32 v18, v20
	v_cvt_f16_f32_e32 v19, v21
	ds_write_b16 v3, v0
	ds_write_b16 v3, v17 offset:64
	ds_write_b16 v3, v18 offset:128
	;; [unrolled: 1-line block ×3, first 2 shown]
	s_waitcnt lgkmcnt(0)
	s_barrier
	ds_read_b64 v[18:19], v1
	v_cndmask_b32_e64 v0, v2, 0, s[14:15]
	v_add_u32_e32 v17, 0xe0, v32
	v_lshl_add_u32 v0, v17, 1, v0
	v_add_lshl_u32 v17, v17, s18, 1
	s_waitcnt lgkmcnt(0)
	buffer_store_dwordx2 v[18:19], v0, s[36:39], 0 offen
	s_waitcnt lgkmcnt(0)
	s_barrier
	scratch_load_dwordx4 v[18:21], off, off offset:3184
	v_or_b32_e32 v0, 0xe0, v4
	v_cmp_gt_i32_e64 s[14:15], s28, v0
	s_and_b64 s[12:13], s[14:15], s[12:13]
	s_and_b64 s[10:11], s[14:15], s[10:11]
	;; [unrolled: 1-line block ×7, first 2 shown]
	s_waitcnt vmcnt(0)
	v_cvt_f16_f32_e32 v0, v18
	v_cvt_f16_f32_e32 v4, v19
	v_cvt_f16_f32_e32 v18, v20
	v_cvt_f16_f32_e32 v19, v21
	ds_write_b16 v3, v0
	ds_write_b16 v3, v4 offset:64
	ds_write_b16 v3, v18 offset:128
	ds_write_b16 v3, v19 offset:192
	s_waitcnt lgkmcnt(0)
	s_barrier
	ds_read_b64 v[18:19], v1
	v_cndmask_b32_e64 v0, v2, 0, s[12:13]
	v_add_u32_e32 v0, v17, v0
	s_waitcnt lgkmcnt(0)
	buffer_store_dwordx2 v[18:19], v0, s[36:39], 0 offen
	s_waitcnt lgkmcnt(0)
	s_barrier
	scratch_load_dwordx4 v[18:21], off, off offset:3168
	s_waitcnt vmcnt(0)
	v_cvt_f16_f32_e32 v0, v18
	v_cvt_f16_f32_e32 v4, v19
	v_cvt_f16_f32_e32 v18, v20
	v_cvt_f16_f32_e32 v19, v21
	ds_write_b16 v3, v0
	ds_write_b16 v3, v4 offset:64
	ds_write_b16 v3, v18 offset:128
	ds_write_b16 v3, v19 offset:192
	s_waitcnt lgkmcnt(0)
	s_barrier
	ds_read_b64 v[18:19], v1
	v_cndmask_b32_e64 v0, v5, v7, s[10:11]
	v_add_u32_e32 v0, v17, v0
	s_waitcnt lgkmcnt(0)
	buffer_store_dwordx2 v[18:19], v0, s[36:39], 0 offen
	s_waitcnt lgkmcnt(0)
	s_barrier
	scratch_load_dwordx4 v[18:21], off, off offset:3152
	;; [unrolled: 19-line block ×6, first 2 shown]
	s_waitcnt vmcnt(0)
	v_cvt_f16_f32_e32 v0, v4
	v_cvt_f16_f32_e32 v4, v5
	;; [unrolled: 1-line block ×4, first 2 shown]
	ds_write_b16 v3, v0
	ds_write_b16 v3, v4 offset:64
	ds_write_b16 v3, v5 offset:128
	;; [unrolled: 1-line block ×3, first 2 shown]
	s_waitcnt lgkmcnt(0)
	s_barrier
	ds_read_b64 v[4:5], v1
	v_cndmask_b32_e64 v0, v14, v16, s[0:1]
	v_add_u32_e32 v0, v17, v0
	s_and_b64 s[0:1], vcc, s[14:15]
	v_cndmask_b32_e64 v2, v2, 0, s[0:1]
	s_waitcnt lgkmcnt(0)
	buffer_store_dwordx2 v[4:5], v0, s[36:39], 0 offen
	s_waitcnt lgkmcnt(0)
	s_barrier
	scratch_load_dwordx4 v[4:7], off, off offset:3072
	s_waitcnt vmcnt(0)
	v_cvt_f16_f32_e32 v0, v4
	v_cvt_f16_f32_e32 v4, v5
	;; [unrolled: 1-line block ×4, first 2 shown]
	ds_write_b16 v3, v0
	ds_write_b16 v3, v4 offset:64
	ds_write_b16 v3, v5 offset:128
	;; [unrolled: 1-line block ×3, first 2 shown]
	s_waitcnt lgkmcnt(0)
	s_barrier
	ds_read_b64 v[0:1], v1
	v_add_u32_e32 v3, s18, v32
	v_lshl_add_u32 v2, v3, 1, v2
	s_waitcnt lgkmcnt(0)
	buffer_store_dwordx2 v[0:1], v2, s[36:39], 0 offen
	s_endpgm
	.section	.rodata,"a",@progbits
	.p2align	6, 0x0
	.amdhsa_kernel _ZN2ck45kernel_gemm_xdl_cshuffle_v3_b_preshuffle_2ldsINS_41GridwiseGemm_xdl_cshuffle_v3_b_preshuffleINS_13tensor_layout4gemm8RowMajorENS3_11ColumnMajorES4_NS_9f8_fnuz_tENS_7pk_i4_tEfDF16_DF16_NS_16tensor_operation12element_wise11PassThroughESA_SA_LNS8_6device18GemmSpecializationE0ELi256ELi256ELi256ELi128ELi16ELi32ELi16ELi16ELi8ELi8ENS_8SequenceIJLi8ELi32ELi1EEEENSD_IJLi1ELi0ELi2EEEESF_Li2ELi16ELi16ELb0ELi0ENSD_IJLi4ELi64ELi1EEEESF_SF_Li2ELi32ELi32ELb0ELi0ELi1ELi1ENSD_IJLi1ELi32ELi1ELi8EEEELi4ELNS_26BlockGemmPipelineSchedulerE0ELNS_24BlockGemmPipelineVersionE2ES6_S6_Lb0ELb0ELi0EEELb1ELNS_25InMemoryDataOperationEnumE0ELi1ELNS_10TailNumberE1EEEvNT_8ArgumentE
		.amdhsa_group_segment_fixed_size 65536
		.amdhsa_private_segment_fixed_size 3312
		.amdhsa_kernarg_size 112
		.amdhsa_user_sgpr_count 2
		.amdhsa_user_sgpr_dispatch_ptr 0
		.amdhsa_user_sgpr_queue_ptr 0
		.amdhsa_user_sgpr_kernarg_segment_ptr 1
		.amdhsa_user_sgpr_dispatch_id 0
		.amdhsa_user_sgpr_kernarg_preload_length 0
		.amdhsa_user_sgpr_kernarg_preload_offset 0
		.amdhsa_user_sgpr_private_segment_size 0
		.amdhsa_uses_dynamic_stack 0
		.amdhsa_enable_private_segment 1
		.amdhsa_system_sgpr_workgroup_id_x 1
		.amdhsa_system_sgpr_workgroup_id_y 0
		.amdhsa_system_sgpr_workgroup_id_z 1
		.amdhsa_system_sgpr_workgroup_info 0
		.amdhsa_system_vgpr_workitem_id 0
		.amdhsa_next_free_vgpr 312
		.amdhsa_next_free_sgpr 96
		.amdhsa_accum_offset 256
		.amdhsa_reserve_vcc 1
		.amdhsa_float_round_mode_32 0
		.amdhsa_float_round_mode_16_64 0
		.amdhsa_float_denorm_mode_32 3
		.amdhsa_float_denorm_mode_16_64 3
		.amdhsa_dx10_clamp 1
		.amdhsa_ieee_mode 1
		.amdhsa_fp16_overflow 0
		.amdhsa_tg_split 0
		.amdhsa_exception_fp_ieee_invalid_op 0
		.amdhsa_exception_fp_denorm_src 0
		.amdhsa_exception_fp_ieee_div_zero 0
		.amdhsa_exception_fp_ieee_overflow 0
		.amdhsa_exception_fp_ieee_underflow 0
		.amdhsa_exception_fp_ieee_inexact 0
		.amdhsa_exception_int_div_zero 0
	.end_amdhsa_kernel
	.section	.text._ZN2ck45kernel_gemm_xdl_cshuffle_v3_b_preshuffle_2ldsINS_41GridwiseGemm_xdl_cshuffle_v3_b_preshuffleINS_13tensor_layout4gemm8RowMajorENS3_11ColumnMajorES4_NS_9f8_fnuz_tENS_7pk_i4_tEfDF16_DF16_NS_16tensor_operation12element_wise11PassThroughESA_SA_LNS8_6device18GemmSpecializationE0ELi256ELi256ELi256ELi128ELi16ELi32ELi16ELi16ELi8ELi8ENS_8SequenceIJLi8ELi32ELi1EEEENSD_IJLi1ELi0ELi2EEEESF_Li2ELi16ELi16ELb0ELi0ENSD_IJLi4ELi64ELi1EEEESF_SF_Li2ELi32ELi32ELb0ELi0ELi1ELi1ENSD_IJLi1ELi32ELi1ELi8EEEELi4ELNS_26BlockGemmPipelineSchedulerE0ELNS_24BlockGemmPipelineVersionE2ES6_S6_Lb0ELb0ELi0EEELb1ELNS_25InMemoryDataOperationEnumE0ELi1ELNS_10TailNumberE1EEEvNT_8ArgumentE,"axG",@progbits,_ZN2ck45kernel_gemm_xdl_cshuffle_v3_b_preshuffle_2ldsINS_41GridwiseGemm_xdl_cshuffle_v3_b_preshuffleINS_13tensor_layout4gemm8RowMajorENS3_11ColumnMajorES4_NS_9f8_fnuz_tENS_7pk_i4_tEfDF16_DF16_NS_16tensor_operation12element_wise11PassThroughESA_SA_LNS8_6device18GemmSpecializationE0ELi256ELi256ELi256ELi128ELi16ELi32ELi16ELi16ELi8ELi8ENS_8SequenceIJLi8ELi32ELi1EEEENSD_IJLi1ELi0ELi2EEEESF_Li2ELi16ELi16ELb0ELi0ENSD_IJLi4ELi64ELi1EEEESF_SF_Li2ELi32ELi32ELb0ELi0ELi1ELi1ENSD_IJLi1ELi32ELi1ELi8EEEELi4ELNS_26BlockGemmPipelineSchedulerE0ELNS_24BlockGemmPipelineVersionE2ES6_S6_Lb0ELb0ELi0EEELb1ELNS_25InMemoryDataOperationEnumE0ELi1ELNS_10TailNumberE1EEEvNT_8ArgumentE,comdat
.Lfunc_end6:
	.size	_ZN2ck45kernel_gemm_xdl_cshuffle_v3_b_preshuffle_2ldsINS_41GridwiseGemm_xdl_cshuffle_v3_b_preshuffleINS_13tensor_layout4gemm8RowMajorENS3_11ColumnMajorES4_NS_9f8_fnuz_tENS_7pk_i4_tEfDF16_DF16_NS_16tensor_operation12element_wise11PassThroughESA_SA_LNS8_6device18GemmSpecializationE0ELi256ELi256ELi256ELi128ELi16ELi32ELi16ELi16ELi8ELi8ENS_8SequenceIJLi8ELi32ELi1EEEENSD_IJLi1ELi0ELi2EEEESF_Li2ELi16ELi16ELb0ELi0ENSD_IJLi4ELi64ELi1EEEESF_SF_Li2ELi32ELi32ELb0ELi0ELi1ELi1ENSD_IJLi1ELi32ELi1ELi8EEEELi4ELNS_26BlockGemmPipelineSchedulerE0ELNS_24BlockGemmPipelineVersionE2ES6_S6_Lb0ELb0ELi0EEELb1ELNS_25InMemoryDataOperationEnumE0ELi1ELNS_10TailNumberE1EEEvNT_8ArgumentE, .Lfunc_end6-_ZN2ck45kernel_gemm_xdl_cshuffle_v3_b_preshuffle_2ldsINS_41GridwiseGemm_xdl_cshuffle_v3_b_preshuffleINS_13tensor_layout4gemm8RowMajorENS3_11ColumnMajorES4_NS_9f8_fnuz_tENS_7pk_i4_tEfDF16_DF16_NS_16tensor_operation12element_wise11PassThroughESA_SA_LNS8_6device18GemmSpecializationE0ELi256ELi256ELi256ELi128ELi16ELi32ELi16ELi16ELi8ELi8ENS_8SequenceIJLi8ELi32ELi1EEEENSD_IJLi1ELi0ELi2EEEESF_Li2ELi16ELi16ELb0ELi0ENSD_IJLi4ELi64ELi1EEEESF_SF_Li2ELi32ELi32ELb0ELi0ELi1ELi1ENSD_IJLi1ELi32ELi1ELi8EEEELi4ELNS_26BlockGemmPipelineSchedulerE0ELNS_24BlockGemmPipelineVersionE2ES6_S6_Lb0ELb0ELi0EEELb1ELNS_25InMemoryDataOperationEnumE0ELi1ELNS_10TailNumberE1EEEvNT_8ArgumentE
                                        ; -- End function
	.set _ZN2ck45kernel_gemm_xdl_cshuffle_v3_b_preshuffle_2ldsINS_41GridwiseGemm_xdl_cshuffle_v3_b_preshuffleINS_13tensor_layout4gemm8RowMajorENS3_11ColumnMajorES4_NS_9f8_fnuz_tENS_7pk_i4_tEfDF16_DF16_NS_16tensor_operation12element_wise11PassThroughESA_SA_LNS8_6device18GemmSpecializationE0ELi256ELi256ELi256ELi128ELi16ELi32ELi16ELi16ELi8ELi8ENS_8SequenceIJLi8ELi32ELi1EEEENSD_IJLi1ELi0ELi2EEEESF_Li2ELi16ELi16ELb0ELi0ENSD_IJLi4ELi64ELi1EEEESF_SF_Li2ELi32ELi32ELb0ELi0ELi1ELi1ENSD_IJLi1ELi32ELi1ELi8EEEELi4ELNS_26BlockGemmPipelineSchedulerE0ELNS_24BlockGemmPipelineVersionE2ES6_S6_Lb0ELb0ELi0EEELb1ELNS_25InMemoryDataOperationEnumE0ELi1ELNS_10TailNumberE1EEEvNT_8ArgumentE.num_vgpr, max(34, .L_ZNK2ck52BlockwiseGemmXdlops_pipeline_bpreshuffle_bdequant_v3ILNS_26BlockGemmPipelineSchedulerE0ELi256ENS_9f8_fnuz_tENS_7pk_i4_tES2_fNS_16TensorDescriptorINS_5TupleIJNS_5EmbedINS5_IJNS_17integral_constantIiLi8EEENS7_IiLi256EEENS7_IiLi16EEEEEENS5_IJSA_NS7_IiLi128EEENS7_IiLi1EEEEEELb0EEENS_3XorINS5_IJS9_S8_EEELb1EEENS_11PassThroughISA_EENS_7UnMergeINS5_IJS8_SD_EEELb0EEENSJ_IS9_EESK_NSJ_IS8_EENS_21Merge_v3_division_modINS5_IJS9_SD_EEEEESK_EEENS5_IJNS_8SequenceIJLi0EEEENSU_IJLi2ELi1EEEENSU_IJLi3EEEENSU_IJLi5EEEENSU_IJLi4EEEENSU_IJLi6EEEENSU_IJLi7EEEENSU_IJLi9ELi8EEEENSU_IJLi10EEEEEEENS5_IJNSU_IJLi1ELi2ELi3EEEENSU_IJLi4ELi5EEEES10_NSU_IJLi7ELi8EEEENSU_IJLi9EEEES13_NSU_IJLi11EEEENSU_IJLi12EEEENSU_IJLi13EEEEEEENSU_IJLi11ELi12ELi13EEEENS7_IlLl32768EEEEENS4_INS5_IJNSL_INS5_IJS8_SD_SD_NS7_IiLi32EEEEEELb0EEEEEENS5_IJSV_EEENS5_IJNSU_IJLi1ELi2ELi3ELi4EEEEEEES1L_NS7_IlLl256EEEEENS4_INS5_IJSF_SI_SK_SN_SO_SK_SP_SS_SK_NSQ_INS5_IJS8_SA_EEEEENSL_INS5_IJS8_NS7_IiLi2EEESA_EEELb0EEEEEENS5_IJSV_SW_SX_SY_SZ_S10_S11_S12_S13_NSU_IJLi11ELi13EEEES1A_EEENS5_IJS15_S16_S10_S17_S18_S13_S19_S1A_S1B_NSU_IJLi14EEEENSU_IJLi15ELi16ELi17EEEEEEENSU_IJLi15ELi16ELi17ELi14EEEES1E_EENS4_INS5_IJS1I_NSQ_ISM_EES1T_EEENS5_IJSV_NSU_IJLi1ELi3EEEENSU_IJLi2EEEEEEENS5_IJS1L_SY_NSU_IJLi6ELi7ELi8EEEEEEENSU_IJLi6ELi7ELi8ELi5EEEES1N_EELi16ELi32ELi256ELi256ELi128ELi16ELi16ELi8ELi8ELi32ELb0EE3RunILb1ELNS_10TailNumberE1ENS4_INS5_IJNS6_INS5_IJiiEEENS5_IJiSD_EEELb0EEENSL_IS2E_Lb0EEENSJ_IiEEEEENS5_IJSV_S25_NSU_IJLi1EEEEEEENS5_IJNSU_IJLi1ELi2EEEENSU_IJLi3ELi4EEEESY_EEENSU_IJLi3ELi5ELi4EEEElEES1F_NS_35ThreadGroupTensorSliceTransfer_v4r1INS_15ThisThreadBlockILi256EEENS_16tensor_operation12element_wise11PassThroughES2W_LNS_25InMemoryDataOperationEnumE0ENSU_IJLi8ELi256ELi16EEEENSU_IJLi8ELi32ELi1EEEENSU_IJLi1ELi0ELi2EEEES2_S2_RKS2Q_KS1F_S30_NSU_IJLi0ELi1ELi2EEEELi2ELi2ELi16ELi16ELi1ELi1ELb0ELb1ELi2EiEENS_13DynamicBufferILNS_16AddressSpaceEnumE1EKS2_lLb1ELNS_22AmdBufferCoherenceEnumE0EiEENS5_IJNS36_ILS37_2ES2_S1E_Lb1ELS39_0EiEES3B_EEENS5_IJiiiEEENS4_INS5_IJNS6_INS5_IJiiiiEEENS5_IJiiiSD_EEELb0EEEEEES1K_S1M_S1L_lEENS_32ThreadwiseTensorSliceTransfer_v2IS3_S3_RKS3I_KS1O_NSU_IJLi8ELi1ELi1ELi32EEEENSU_IJLi1ELi2ELi0ELi3EEEELi3ELi32ELi0ELb1ELb0ELb0EEENS36_ILS37_1EKS3_lLb1ELS39_0EiEENS5_IJNS_12StaticBufferILS37_4ES3_Li256ELb1EEES3T_EEES3E_NS_25StaticBufferTupleOfVectorILS37_4EfLi64ELi4ELb1ELb0EEEEEvRKT1_RKT2_RT3_RKT4_RT5_RKT6_RKT7_RT8_RKT9_RT10_RKT11_RT12_i.num_vgpr)
	.set _ZN2ck45kernel_gemm_xdl_cshuffle_v3_b_preshuffle_2ldsINS_41GridwiseGemm_xdl_cshuffle_v3_b_preshuffleINS_13tensor_layout4gemm8RowMajorENS3_11ColumnMajorES4_NS_9f8_fnuz_tENS_7pk_i4_tEfDF16_DF16_NS_16tensor_operation12element_wise11PassThroughESA_SA_LNS8_6device18GemmSpecializationE0ELi256ELi256ELi256ELi128ELi16ELi32ELi16ELi16ELi8ELi8ENS_8SequenceIJLi8ELi32ELi1EEEENSD_IJLi1ELi0ELi2EEEESF_Li2ELi16ELi16ELb0ELi0ENSD_IJLi4ELi64ELi1EEEESF_SF_Li2ELi32ELi32ELb0ELi0ELi1ELi1ENSD_IJLi1ELi32ELi1ELi8EEEELi4ELNS_26BlockGemmPipelineSchedulerE0ELNS_24BlockGemmPipelineVersionE2ES6_S6_Lb0ELb0ELi0EEELb1ELNS_25InMemoryDataOperationEnumE0ELi1ELNS_10TailNumberE1EEEvNT_8ArgumentE.num_agpr, max(56, .L_ZNK2ck52BlockwiseGemmXdlops_pipeline_bpreshuffle_bdequant_v3ILNS_26BlockGemmPipelineSchedulerE0ELi256ENS_9f8_fnuz_tENS_7pk_i4_tES2_fNS_16TensorDescriptorINS_5TupleIJNS_5EmbedINS5_IJNS_17integral_constantIiLi8EEENS7_IiLi256EEENS7_IiLi16EEEEEENS5_IJSA_NS7_IiLi128EEENS7_IiLi1EEEEEELb0EEENS_3XorINS5_IJS9_S8_EEELb1EEENS_11PassThroughISA_EENS_7UnMergeINS5_IJS8_SD_EEELb0EEENSJ_IS9_EESK_NSJ_IS8_EENS_21Merge_v3_division_modINS5_IJS9_SD_EEEEESK_EEENS5_IJNS_8SequenceIJLi0EEEENSU_IJLi2ELi1EEEENSU_IJLi3EEEENSU_IJLi5EEEENSU_IJLi4EEEENSU_IJLi6EEEENSU_IJLi7EEEENSU_IJLi9ELi8EEEENSU_IJLi10EEEEEEENS5_IJNSU_IJLi1ELi2ELi3EEEENSU_IJLi4ELi5EEEES10_NSU_IJLi7ELi8EEEENSU_IJLi9EEEES13_NSU_IJLi11EEEENSU_IJLi12EEEENSU_IJLi13EEEEEEENSU_IJLi11ELi12ELi13EEEENS7_IlLl32768EEEEENS4_INS5_IJNSL_INS5_IJS8_SD_SD_NS7_IiLi32EEEEEELb0EEEEEENS5_IJSV_EEENS5_IJNSU_IJLi1ELi2ELi3ELi4EEEEEEES1L_NS7_IlLl256EEEEENS4_INS5_IJSF_SI_SK_SN_SO_SK_SP_SS_SK_NSQ_INS5_IJS8_SA_EEEEENSL_INS5_IJS8_NS7_IiLi2EEESA_EEELb0EEEEEENS5_IJSV_SW_SX_SY_SZ_S10_S11_S12_S13_NSU_IJLi11ELi13EEEES1A_EEENS5_IJS15_S16_S10_S17_S18_S13_S19_S1A_S1B_NSU_IJLi14EEEENSU_IJLi15ELi16ELi17EEEEEEENSU_IJLi15ELi16ELi17ELi14EEEES1E_EENS4_INS5_IJS1I_NSQ_ISM_EES1T_EEENS5_IJSV_NSU_IJLi1ELi3EEEENSU_IJLi2EEEEEEENS5_IJS1L_SY_NSU_IJLi6ELi7ELi8EEEEEEENSU_IJLi6ELi7ELi8ELi5EEEES1N_EELi16ELi32ELi256ELi256ELi128ELi16ELi16ELi8ELi8ELi32ELb0EE3RunILb1ELNS_10TailNumberE1ENS4_INS5_IJNS6_INS5_IJiiEEENS5_IJiSD_EEELb0EEENSL_IS2E_Lb0EEENSJ_IiEEEEENS5_IJSV_S25_NSU_IJLi1EEEEEEENS5_IJNSU_IJLi1ELi2EEEENSU_IJLi3ELi4EEEESY_EEENSU_IJLi3ELi5ELi4EEEElEES1F_NS_35ThreadGroupTensorSliceTransfer_v4r1INS_15ThisThreadBlockILi256EEENS_16tensor_operation12element_wise11PassThroughES2W_LNS_25InMemoryDataOperationEnumE0ENSU_IJLi8ELi256ELi16EEEENSU_IJLi8ELi32ELi1EEEENSU_IJLi1ELi0ELi2EEEES2_S2_RKS2Q_KS1F_S30_NSU_IJLi0ELi1ELi2EEEELi2ELi2ELi16ELi16ELi1ELi1ELb0ELb1ELi2EiEENS_13DynamicBufferILNS_16AddressSpaceEnumE1EKS2_lLb1ELNS_22AmdBufferCoherenceEnumE0EiEENS5_IJNS36_ILS37_2ES2_S1E_Lb1ELS39_0EiEES3B_EEENS5_IJiiiEEENS4_INS5_IJNS6_INS5_IJiiiiEEENS5_IJiiiSD_EEELb0EEEEEES1K_S1M_S1L_lEENS_32ThreadwiseTensorSliceTransfer_v2IS3_S3_RKS3I_KS1O_NSU_IJLi8ELi1ELi1ELi32EEEENSU_IJLi1ELi2ELi0ELi3EEEELi3ELi32ELi0ELb1ELb0ELb0EEENS36_ILS37_1EKS3_lLb1ELS39_0EiEENS5_IJNS_12StaticBufferILS37_4ES3_Li256ELb1EEES3T_EEES3E_NS_25StaticBufferTupleOfVectorILS37_4EfLi64ELi4ELb1ELb0EEEEEvRKT1_RKT2_RT3_RKT4_RT5_RKT6_RKT7_RT8_RKT9_RT10_RKT11_RT12_i.num_agpr)
	.set _ZN2ck45kernel_gemm_xdl_cshuffle_v3_b_preshuffle_2ldsINS_41GridwiseGemm_xdl_cshuffle_v3_b_preshuffleINS_13tensor_layout4gemm8RowMajorENS3_11ColumnMajorES4_NS_9f8_fnuz_tENS_7pk_i4_tEfDF16_DF16_NS_16tensor_operation12element_wise11PassThroughESA_SA_LNS8_6device18GemmSpecializationE0ELi256ELi256ELi256ELi128ELi16ELi32ELi16ELi16ELi8ELi8ENS_8SequenceIJLi8ELi32ELi1EEEENSD_IJLi1ELi0ELi2EEEESF_Li2ELi16ELi16ELb0ELi0ENSD_IJLi4ELi64ELi1EEEESF_SF_Li2ELi32ELi32ELb0ELi0ELi1ELi1ENSD_IJLi1ELi32ELi1ELi8EEEELi4ELNS_26BlockGemmPipelineSchedulerE0ELNS_24BlockGemmPipelineVersionE2ES6_S6_Lb0ELb0ELi0EEELb1ELNS_25InMemoryDataOperationEnumE0ELi1ELNS_10TailNumberE1EEEvNT_8ArgumentE.numbered_sgpr, max(40, .L_ZNK2ck52BlockwiseGemmXdlops_pipeline_bpreshuffle_bdequant_v3ILNS_26BlockGemmPipelineSchedulerE0ELi256ENS_9f8_fnuz_tENS_7pk_i4_tES2_fNS_16TensorDescriptorINS_5TupleIJNS_5EmbedINS5_IJNS_17integral_constantIiLi8EEENS7_IiLi256EEENS7_IiLi16EEEEEENS5_IJSA_NS7_IiLi128EEENS7_IiLi1EEEEEELb0EEENS_3XorINS5_IJS9_S8_EEELb1EEENS_11PassThroughISA_EENS_7UnMergeINS5_IJS8_SD_EEELb0EEENSJ_IS9_EESK_NSJ_IS8_EENS_21Merge_v3_division_modINS5_IJS9_SD_EEEEESK_EEENS5_IJNS_8SequenceIJLi0EEEENSU_IJLi2ELi1EEEENSU_IJLi3EEEENSU_IJLi5EEEENSU_IJLi4EEEENSU_IJLi6EEEENSU_IJLi7EEEENSU_IJLi9ELi8EEEENSU_IJLi10EEEEEEENS5_IJNSU_IJLi1ELi2ELi3EEEENSU_IJLi4ELi5EEEES10_NSU_IJLi7ELi8EEEENSU_IJLi9EEEES13_NSU_IJLi11EEEENSU_IJLi12EEEENSU_IJLi13EEEEEEENSU_IJLi11ELi12ELi13EEEENS7_IlLl32768EEEEENS4_INS5_IJNSL_INS5_IJS8_SD_SD_NS7_IiLi32EEEEEELb0EEEEEENS5_IJSV_EEENS5_IJNSU_IJLi1ELi2ELi3ELi4EEEEEEES1L_NS7_IlLl256EEEEENS4_INS5_IJSF_SI_SK_SN_SO_SK_SP_SS_SK_NSQ_INS5_IJS8_SA_EEEEENSL_INS5_IJS8_NS7_IiLi2EEESA_EEELb0EEEEEENS5_IJSV_SW_SX_SY_SZ_S10_S11_S12_S13_NSU_IJLi11ELi13EEEES1A_EEENS5_IJS15_S16_S10_S17_S18_S13_S19_S1A_S1B_NSU_IJLi14EEEENSU_IJLi15ELi16ELi17EEEEEEENSU_IJLi15ELi16ELi17ELi14EEEES1E_EENS4_INS5_IJS1I_NSQ_ISM_EES1T_EEENS5_IJSV_NSU_IJLi1ELi3EEEENSU_IJLi2EEEEEEENS5_IJS1L_SY_NSU_IJLi6ELi7ELi8EEEEEEENSU_IJLi6ELi7ELi8ELi5EEEES1N_EELi16ELi32ELi256ELi256ELi128ELi16ELi16ELi8ELi8ELi32ELb0EE3RunILb1ELNS_10TailNumberE1ENS4_INS5_IJNS6_INS5_IJiiEEENS5_IJiSD_EEELb0EEENSL_IS2E_Lb0EEENSJ_IiEEEEENS5_IJSV_S25_NSU_IJLi1EEEEEEENS5_IJNSU_IJLi1ELi2EEEENSU_IJLi3ELi4EEEESY_EEENSU_IJLi3ELi5ELi4EEEElEES1F_NS_35ThreadGroupTensorSliceTransfer_v4r1INS_15ThisThreadBlockILi256EEENS_16tensor_operation12element_wise11PassThroughES2W_LNS_25InMemoryDataOperationEnumE0ENSU_IJLi8ELi256ELi16EEEENSU_IJLi8ELi32ELi1EEEENSU_IJLi1ELi0ELi2EEEES2_S2_RKS2Q_KS1F_S30_NSU_IJLi0ELi1ELi2EEEELi2ELi2ELi16ELi16ELi1ELi1ELb0ELb1ELi2EiEENS_13DynamicBufferILNS_16AddressSpaceEnumE1EKS2_lLb1ELNS_22AmdBufferCoherenceEnumE0EiEENS5_IJNS36_ILS37_2ES2_S1E_Lb1ELS39_0EiEES3B_EEENS5_IJiiiEEENS4_INS5_IJNS6_INS5_IJiiiiEEENS5_IJiiiSD_EEELb0EEEEEES1K_S1M_S1L_lEENS_32ThreadwiseTensorSliceTransfer_v2IS3_S3_RKS3I_KS1O_NSU_IJLi8ELi1ELi1ELi32EEEENSU_IJLi1ELi2ELi0ELi3EEEELi3ELi32ELi0ELb1ELb0ELb0EEENS36_ILS37_1EKS3_lLb1ELS39_0EiEENS5_IJNS_12StaticBufferILS37_4ES3_Li256ELb1EEES3T_EEES3E_NS_25StaticBufferTupleOfVectorILS37_4EfLi64ELi4ELb1ELb0EEEEEvRKT1_RKT2_RT3_RKT4_RT5_RKT6_RKT7_RT8_RKT9_RT10_RKT11_RT12_i.numbered_sgpr)
	.set _ZN2ck45kernel_gemm_xdl_cshuffle_v3_b_preshuffle_2ldsINS_41GridwiseGemm_xdl_cshuffle_v3_b_preshuffleINS_13tensor_layout4gemm8RowMajorENS3_11ColumnMajorES4_NS_9f8_fnuz_tENS_7pk_i4_tEfDF16_DF16_NS_16tensor_operation12element_wise11PassThroughESA_SA_LNS8_6device18GemmSpecializationE0ELi256ELi256ELi256ELi128ELi16ELi32ELi16ELi16ELi8ELi8ENS_8SequenceIJLi8ELi32ELi1EEEENSD_IJLi1ELi0ELi2EEEESF_Li2ELi16ELi16ELb0ELi0ENSD_IJLi4ELi64ELi1EEEESF_SF_Li2ELi32ELi32ELb0ELi0ELi1ELi1ENSD_IJLi1ELi32ELi1ELi8EEEELi4ELNS_26BlockGemmPipelineSchedulerE0ELNS_24BlockGemmPipelineVersionE2ES6_S6_Lb0ELb0ELi0EEELb1ELNS_25InMemoryDataOperationEnumE0ELi1ELNS_10TailNumberE1EEEvNT_8ArgumentE.num_named_barrier, max(0, .L_ZNK2ck52BlockwiseGemmXdlops_pipeline_bpreshuffle_bdequant_v3ILNS_26BlockGemmPipelineSchedulerE0ELi256ENS_9f8_fnuz_tENS_7pk_i4_tES2_fNS_16TensorDescriptorINS_5TupleIJNS_5EmbedINS5_IJNS_17integral_constantIiLi8EEENS7_IiLi256EEENS7_IiLi16EEEEEENS5_IJSA_NS7_IiLi128EEENS7_IiLi1EEEEEELb0EEENS_3XorINS5_IJS9_S8_EEELb1EEENS_11PassThroughISA_EENS_7UnMergeINS5_IJS8_SD_EEELb0EEENSJ_IS9_EESK_NSJ_IS8_EENS_21Merge_v3_division_modINS5_IJS9_SD_EEEEESK_EEENS5_IJNS_8SequenceIJLi0EEEENSU_IJLi2ELi1EEEENSU_IJLi3EEEENSU_IJLi5EEEENSU_IJLi4EEEENSU_IJLi6EEEENSU_IJLi7EEEENSU_IJLi9ELi8EEEENSU_IJLi10EEEEEEENS5_IJNSU_IJLi1ELi2ELi3EEEENSU_IJLi4ELi5EEEES10_NSU_IJLi7ELi8EEEENSU_IJLi9EEEES13_NSU_IJLi11EEEENSU_IJLi12EEEENSU_IJLi13EEEEEEENSU_IJLi11ELi12ELi13EEEENS7_IlLl32768EEEEENS4_INS5_IJNSL_INS5_IJS8_SD_SD_NS7_IiLi32EEEEEELb0EEEEEENS5_IJSV_EEENS5_IJNSU_IJLi1ELi2ELi3ELi4EEEEEEES1L_NS7_IlLl256EEEEENS4_INS5_IJSF_SI_SK_SN_SO_SK_SP_SS_SK_NSQ_INS5_IJS8_SA_EEEEENSL_INS5_IJS8_NS7_IiLi2EEESA_EEELb0EEEEEENS5_IJSV_SW_SX_SY_SZ_S10_S11_S12_S13_NSU_IJLi11ELi13EEEES1A_EEENS5_IJS15_S16_S10_S17_S18_S13_S19_S1A_S1B_NSU_IJLi14EEEENSU_IJLi15ELi16ELi17EEEEEEENSU_IJLi15ELi16ELi17ELi14EEEES1E_EENS4_INS5_IJS1I_NSQ_ISM_EES1T_EEENS5_IJSV_NSU_IJLi1ELi3EEEENSU_IJLi2EEEEEEENS5_IJS1L_SY_NSU_IJLi6ELi7ELi8EEEEEEENSU_IJLi6ELi7ELi8ELi5EEEES1N_EELi16ELi32ELi256ELi256ELi128ELi16ELi16ELi8ELi8ELi32ELb0EE3RunILb1ELNS_10TailNumberE1ENS4_INS5_IJNS6_INS5_IJiiEEENS5_IJiSD_EEELb0EEENSL_IS2E_Lb0EEENSJ_IiEEEEENS5_IJSV_S25_NSU_IJLi1EEEEEEENS5_IJNSU_IJLi1ELi2EEEENSU_IJLi3ELi4EEEESY_EEENSU_IJLi3ELi5ELi4EEEElEES1F_NS_35ThreadGroupTensorSliceTransfer_v4r1INS_15ThisThreadBlockILi256EEENS_16tensor_operation12element_wise11PassThroughES2W_LNS_25InMemoryDataOperationEnumE0ENSU_IJLi8ELi256ELi16EEEENSU_IJLi8ELi32ELi1EEEENSU_IJLi1ELi0ELi2EEEES2_S2_RKS2Q_KS1F_S30_NSU_IJLi0ELi1ELi2EEEELi2ELi2ELi16ELi16ELi1ELi1ELb0ELb1ELi2EiEENS_13DynamicBufferILNS_16AddressSpaceEnumE1EKS2_lLb1ELNS_22AmdBufferCoherenceEnumE0EiEENS5_IJNS36_ILS37_2ES2_S1E_Lb1ELS39_0EiEES3B_EEENS5_IJiiiEEENS4_INS5_IJNS6_INS5_IJiiiiEEENS5_IJiiiSD_EEELb0EEEEEES1K_S1M_S1L_lEENS_32ThreadwiseTensorSliceTransfer_v2IS3_S3_RKS3I_KS1O_NSU_IJLi8ELi1ELi1ELi32EEEENSU_IJLi1ELi2ELi0ELi3EEEELi3ELi32ELi0ELb1ELb0ELb0EEENS36_ILS37_1EKS3_lLb1ELS39_0EiEENS5_IJNS_12StaticBufferILS37_4ES3_Li256ELb1EEES3T_EEES3E_NS_25StaticBufferTupleOfVectorILS37_4EfLi64ELi4ELb1ELb0EEEEEvRKT1_RKT2_RT3_RKT4_RT5_RKT6_RKT7_RT8_RKT9_RT10_RKT11_RT12_i.num_named_barrier)
	.set _ZN2ck45kernel_gemm_xdl_cshuffle_v3_b_preshuffle_2ldsINS_41GridwiseGemm_xdl_cshuffle_v3_b_preshuffleINS_13tensor_layout4gemm8RowMajorENS3_11ColumnMajorES4_NS_9f8_fnuz_tENS_7pk_i4_tEfDF16_DF16_NS_16tensor_operation12element_wise11PassThroughESA_SA_LNS8_6device18GemmSpecializationE0ELi256ELi256ELi256ELi128ELi16ELi32ELi16ELi16ELi8ELi8ENS_8SequenceIJLi8ELi32ELi1EEEENSD_IJLi1ELi0ELi2EEEESF_Li2ELi16ELi16ELb0ELi0ENSD_IJLi4ELi64ELi1EEEESF_SF_Li2ELi32ELi32ELb0ELi0ELi1ELi1ENSD_IJLi1ELi32ELi1ELi8EEEELi4ELNS_26BlockGemmPipelineSchedulerE0ELNS_24BlockGemmPipelineVersionE2ES6_S6_Lb0ELb0ELi0EEELb1ELNS_25InMemoryDataOperationEnumE0ELi1ELNS_10TailNumberE1EEEvNT_8ArgumentE.private_seg_size, 3312+max(.L_ZNK2ck52BlockwiseGemmXdlops_pipeline_bpreshuffle_bdequant_v3ILNS_26BlockGemmPipelineSchedulerE0ELi256ENS_9f8_fnuz_tENS_7pk_i4_tES2_fNS_16TensorDescriptorINS_5TupleIJNS_5EmbedINS5_IJNS_17integral_constantIiLi8EEENS7_IiLi256EEENS7_IiLi16EEEEEENS5_IJSA_NS7_IiLi128EEENS7_IiLi1EEEEEELb0EEENS_3XorINS5_IJS9_S8_EEELb1EEENS_11PassThroughISA_EENS_7UnMergeINS5_IJS8_SD_EEELb0EEENSJ_IS9_EESK_NSJ_IS8_EENS_21Merge_v3_division_modINS5_IJS9_SD_EEEEESK_EEENS5_IJNS_8SequenceIJLi0EEEENSU_IJLi2ELi1EEEENSU_IJLi3EEEENSU_IJLi5EEEENSU_IJLi4EEEENSU_IJLi6EEEENSU_IJLi7EEEENSU_IJLi9ELi8EEEENSU_IJLi10EEEEEEENS5_IJNSU_IJLi1ELi2ELi3EEEENSU_IJLi4ELi5EEEES10_NSU_IJLi7ELi8EEEENSU_IJLi9EEEES13_NSU_IJLi11EEEENSU_IJLi12EEEENSU_IJLi13EEEEEEENSU_IJLi11ELi12ELi13EEEENS7_IlLl32768EEEEENS4_INS5_IJNSL_INS5_IJS8_SD_SD_NS7_IiLi32EEEEEELb0EEEEEENS5_IJSV_EEENS5_IJNSU_IJLi1ELi2ELi3ELi4EEEEEEES1L_NS7_IlLl256EEEEENS4_INS5_IJSF_SI_SK_SN_SO_SK_SP_SS_SK_NSQ_INS5_IJS8_SA_EEEEENSL_INS5_IJS8_NS7_IiLi2EEESA_EEELb0EEEEEENS5_IJSV_SW_SX_SY_SZ_S10_S11_S12_S13_NSU_IJLi11ELi13EEEES1A_EEENS5_IJS15_S16_S10_S17_S18_S13_S19_S1A_S1B_NSU_IJLi14EEEENSU_IJLi15ELi16ELi17EEEEEEENSU_IJLi15ELi16ELi17ELi14EEEES1E_EENS4_INS5_IJS1I_NSQ_ISM_EES1T_EEENS5_IJSV_NSU_IJLi1ELi3EEEENSU_IJLi2EEEEEEENS5_IJS1L_SY_NSU_IJLi6ELi7ELi8EEEEEEENSU_IJLi6ELi7ELi8ELi5EEEES1N_EELi16ELi32ELi256ELi256ELi128ELi16ELi16ELi8ELi8ELi32ELb0EE3RunILb1ELNS_10TailNumberE1ENS4_INS5_IJNS6_INS5_IJiiEEENS5_IJiSD_EEELb0EEENSL_IS2E_Lb0EEENSJ_IiEEEEENS5_IJSV_S25_NSU_IJLi1EEEEEEENS5_IJNSU_IJLi1ELi2EEEENSU_IJLi3ELi4EEEESY_EEENSU_IJLi3ELi5ELi4EEEElEES1F_NS_35ThreadGroupTensorSliceTransfer_v4r1INS_15ThisThreadBlockILi256EEENS_16tensor_operation12element_wise11PassThroughES2W_LNS_25InMemoryDataOperationEnumE0ENSU_IJLi8ELi256ELi16EEEENSU_IJLi8ELi32ELi1EEEENSU_IJLi1ELi0ELi2EEEES2_S2_RKS2Q_KS1F_S30_NSU_IJLi0ELi1ELi2EEEELi2ELi2ELi16ELi16ELi1ELi1ELb0ELb1ELi2EiEENS_13DynamicBufferILNS_16AddressSpaceEnumE1EKS2_lLb1ELNS_22AmdBufferCoherenceEnumE0EiEENS5_IJNS36_ILS37_2ES2_S1E_Lb1ELS39_0EiEES3B_EEENS5_IJiiiEEENS4_INS5_IJNS6_INS5_IJiiiiEEENS5_IJiiiSD_EEELb0EEEEEES1K_S1M_S1L_lEENS_32ThreadwiseTensorSliceTransfer_v2IS3_S3_RKS3I_KS1O_NSU_IJLi8ELi1ELi1ELi32EEEENSU_IJLi1ELi2ELi0ELi3EEEELi3ELi32ELi0ELb1ELb0ELb0EEENS36_ILS37_1EKS3_lLb1ELS39_0EiEENS5_IJNS_12StaticBufferILS37_4ES3_Li256ELb1EEES3T_EEES3E_NS_25StaticBufferTupleOfVectorILS37_4EfLi64ELi4ELb1ELb0EEEEEvRKT1_RKT2_RT3_RKT4_RT5_RKT6_RKT7_RT8_RKT9_RT10_RKT11_RT12_i.private_seg_size)
	.set _ZN2ck45kernel_gemm_xdl_cshuffle_v3_b_preshuffle_2ldsINS_41GridwiseGemm_xdl_cshuffle_v3_b_preshuffleINS_13tensor_layout4gemm8RowMajorENS3_11ColumnMajorES4_NS_9f8_fnuz_tENS_7pk_i4_tEfDF16_DF16_NS_16tensor_operation12element_wise11PassThroughESA_SA_LNS8_6device18GemmSpecializationE0ELi256ELi256ELi256ELi128ELi16ELi32ELi16ELi16ELi8ELi8ENS_8SequenceIJLi8ELi32ELi1EEEENSD_IJLi1ELi0ELi2EEEESF_Li2ELi16ELi16ELb0ELi0ENSD_IJLi4ELi64ELi1EEEESF_SF_Li2ELi32ELi32ELb0ELi0ELi1ELi1ENSD_IJLi1ELi32ELi1ELi8EEEELi4ELNS_26BlockGemmPipelineSchedulerE0ELNS_24BlockGemmPipelineVersionE2ES6_S6_Lb0ELb0ELi0EEELb1ELNS_25InMemoryDataOperationEnumE0ELi1ELNS_10TailNumberE1EEEvNT_8ArgumentE.uses_vcc, or(1, .L_ZNK2ck52BlockwiseGemmXdlops_pipeline_bpreshuffle_bdequant_v3ILNS_26BlockGemmPipelineSchedulerE0ELi256ENS_9f8_fnuz_tENS_7pk_i4_tES2_fNS_16TensorDescriptorINS_5TupleIJNS_5EmbedINS5_IJNS_17integral_constantIiLi8EEENS7_IiLi256EEENS7_IiLi16EEEEEENS5_IJSA_NS7_IiLi128EEENS7_IiLi1EEEEEELb0EEENS_3XorINS5_IJS9_S8_EEELb1EEENS_11PassThroughISA_EENS_7UnMergeINS5_IJS8_SD_EEELb0EEENSJ_IS9_EESK_NSJ_IS8_EENS_21Merge_v3_division_modINS5_IJS9_SD_EEEEESK_EEENS5_IJNS_8SequenceIJLi0EEEENSU_IJLi2ELi1EEEENSU_IJLi3EEEENSU_IJLi5EEEENSU_IJLi4EEEENSU_IJLi6EEEENSU_IJLi7EEEENSU_IJLi9ELi8EEEENSU_IJLi10EEEEEEENS5_IJNSU_IJLi1ELi2ELi3EEEENSU_IJLi4ELi5EEEES10_NSU_IJLi7ELi8EEEENSU_IJLi9EEEES13_NSU_IJLi11EEEENSU_IJLi12EEEENSU_IJLi13EEEEEEENSU_IJLi11ELi12ELi13EEEENS7_IlLl32768EEEEENS4_INS5_IJNSL_INS5_IJS8_SD_SD_NS7_IiLi32EEEEEELb0EEEEEENS5_IJSV_EEENS5_IJNSU_IJLi1ELi2ELi3ELi4EEEEEEES1L_NS7_IlLl256EEEEENS4_INS5_IJSF_SI_SK_SN_SO_SK_SP_SS_SK_NSQ_INS5_IJS8_SA_EEEEENSL_INS5_IJS8_NS7_IiLi2EEESA_EEELb0EEEEEENS5_IJSV_SW_SX_SY_SZ_S10_S11_S12_S13_NSU_IJLi11ELi13EEEES1A_EEENS5_IJS15_S16_S10_S17_S18_S13_S19_S1A_S1B_NSU_IJLi14EEEENSU_IJLi15ELi16ELi17EEEEEEENSU_IJLi15ELi16ELi17ELi14EEEES1E_EENS4_INS5_IJS1I_NSQ_ISM_EES1T_EEENS5_IJSV_NSU_IJLi1ELi3EEEENSU_IJLi2EEEEEEENS5_IJS1L_SY_NSU_IJLi6ELi7ELi8EEEEEEENSU_IJLi6ELi7ELi8ELi5EEEES1N_EELi16ELi32ELi256ELi256ELi128ELi16ELi16ELi8ELi8ELi32ELb0EE3RunILb1ELNS_10TailNumberE1ENS4_INS5_IJNS6_INS5_IJiiEEENS5_IJiSD_EEELb0EEENSL_IS2E_Lb0EEENSJ_IiEEEEENS5_IJSV_S25_NSU_IJLi1EEEEEEENS5_IJNSU_IJLi1ELi2EEEENSU_IJLi3ELi4EEEESY_EEENSU_IJLi3ELi5ELi4EEEElEES1F_NS_35ThreadGroupTensorSliceTransfer_v4r1INS_15ThisThreadBlockILi256EEENS_16tensor_operation12element_wise11PassThroughES2W_LNS_25InMemoryDataOperationEnumE0ENSU_IJLi8ELi256ELi16EEEENSU_IJLi8ELi32ELi1EEEENSU_IJLi1ELi0ELi2EEEES2_S2_RKS2Q_KS1F_S30_NSU_IJLi0ELi1ELi2EEEELi2ELi2ELi16ELi16ELi1ELi1ELb0ELb1ELi2EiEENS_13DynamicBufferILNS_16AddressSpaceEnumE1EKS2_lLb1ELNS_22AmdBufferCoherenceEnumE0EiEENS5_IJNS36_ILS37_2ES2_S1E_Lb1ELS39_0EiEES3B_EEENS5_IJiiiEEENS4_INS5_IJNS6_INS5_IJiiiiEEENS5_IJiiiSD_EEELb0EEEEEES1K_S1M_S1L_lEENS_32ThreadwiseTensorSliceTransfer_v2IS3_S3_RKS3I_KS1O_NSU_IJLi8ELi1ELi1ELi32EEEENSU_IJLi1ELi2ELi0ELi3EEEELi3ELi32ELi0ELb1ELb0ELb0EEENS36_ILS37_1EKS3_lLb1ELS39_0EiEENS5_IJNS_12StaticBufferILS37_4ES3_Li256ELb1EEES3T_EEES3E_NS_25StaticBufferTupleOfVectorILS37_4EfLi64ELi4ELb1ELb0EEEEEvRKT1_RKT2_RT3_RKT4_RT5_RKT6_RKT7_RT8_RKT9_RT10_RKT11_RT12_i.uses_vcc)
	.set _ZN2ck45kernel_gemm_xdl_cshuffle_v3_b_preshuffle_2ldsINS_41GridwiseGemm_xdl_cshuffle_v3_b_preshuffleINS_13tensor_layout4gemm8RowMajorENS3_11ColumnMajorES4_NS_9f8_fnuz_tENS_7pk_i4_tEfDF16_DF16_NS_16tensor_operation12element_wise11PassThroughESA_SA_LNS8_6device18GemmSpecializationE0ELi256ELi256ELi256ELi128ELi16ELi32ELi16ELi16ELi8ELi8ENS_8SequenceIJLi8ELi32ELi1EEEENSD_IJLi1ELi0ELi2EEEESF_Li2ELi16ELi16ELb0ELi0ENSD_IJLi4ELi64ELi1EEEESF_SF_Li2ELi32ELi32ELb0ELi0ELi1ELi1ENSD_IJLi1ELi32ELi1ELi8EEEELi4ELNS_26BlockGemmPipelineSchedulerE0ELNS_24BlockGemmPipelineVersionE2ES6_S6_Lb0ELb0ELi0EEELb1ELNS_25InMemoryDataOperationEnumE0ELi1ELNS_10TailNumberE1EEEvNT_8ArgumentE.uses_flat_scratch, or(0, .L_ZNK2ck52BlockwiseGemmXdlops_pipeline_bpreshuffle_bdequant_v3ILNS_26BlockGemmPipelineSchedulerE0ELi256ENS_9f8_fnuz_tENS_7pk_i4_tES2_fNS_16TensorDescriptorINS_5TupleIJNS_5EmbedINS5_IJNS_17integral_constantIiLi8EEENS7_IiLi256EEENS7_IiLi16EEEEEENS5_IJSA_NS7_IiLi128EEENS7_IiLi1EEEEEELb0EEENS_3XorINS5_IJS9_S8_EEELb1EEENS_11PassThroughISA_EENS_7UnMergeINS5_IJS8_SD_EEELb0EEENSJ_IS9_EESK_NSJ_IS8_EENS_21Merge_v3_division_modINS5_IJS9_SD_EEEEESK_EEENS5_IJNS_8SequenceIJLi0EEEENSU_IJLi2ELi1EEEENSU_IJLi3EEEENSU_IJLi5EEEENSU_IJLi4EEEENSU_IJLi6EEEENSU_IJLi7EEEENSU_IJLi9ELi8EEEENSU_IJLi10EEEEEEENS5_IJNSU_IJLi1ELi2ELi3EEEENSU_IJLi4ELi5EEEES10_NSU_IJLi7ELi8EEEENSU_IJLi9EEEES13_NSU_IJLi11EEEENSU_IJLi12EEEENSU_IJLi13EEEEEEENSU_IJLi11ELi12ELi13EEEENS7_IlLl32768EEEEENS4_INS5_IJNSL_INS5_IJS8_SD_SD_NS7_IiLi32EEEEEELb0EEEEEENS5_IJSV_EEENS5_IJNSU_IJLi1ELi2ELi3ELi4EEEEEEES1L_NS7_IlLl256EEEEENS4_INS5_IJSF_SI_SK_SN_SO_SK_SP_SS_SK_NSQ_INS5_IJS8_SA_EEEEENSL_INS5_IJS8_NS7_IiLi2EEESA_EEELb0EEEEEENS5_IJSV_SW_SX_SY_SZ_S10_S11_S12_S13_NSU_IJLi11ELi13EEEES1A_EEENS5_IJS15_S16_S10_S17_S18_S13_S19_S1A_S1B_NSU_IJLi14EEEENSU_IJLi15ELi16ELi17EEEEEEENSU_IJLi15ELi16ELi17ELi14EEEES1E_EENS4_INS5_IJS1I_NSQ_ISM_EES1T_EEENS5_IJSV_NSU_IJLi1ELi3EEEENSU_IJLi2EEEEEEENS5_IJS1L_SY_NSU_IJLi6ELi7ELi8EEEEEEENSU_IJLi6ELi7ELi8ELi5EEEES1N_EELi16ELi32ELi256ELi256ELi128ELi16ELi16ELi8ELi8ELi32ELb0EE3RunILb1ELNS_10TailNumberE1ENS4_INS5_IJNS6_INS5_IJiiEEENS5_IJiSD_EEELb0EEENSL_IS2E_Lb0EEENSJ_IiEEEEENS5_IJSV_S25_NSU_IJLi1EEEEEEENS5_IJNSU_IJLi1ELi2EEEENSU_IJLi3ELi4EEEESY_EEENSU_IJLi3ELi5ELi4EEEElEES1F_NS_35ThreadGroupTensorSliceTransfer_v4r1INS_15ThisThreadBlockILi256EEENS_16tensor_operation12element_wise11PassThroughES2W_LNS_25InMemoryDataOperationEnumE0ENSU_IJLi8ELi256ELi16EEEENSU_IJLi8ELi32ELi1EEEENSU_IJLi1ELi0ELi2EEEES2_S2_RKS2Q_KS1F_S30_NSU_IJLi0ELi1ELi2EEEELi2ELi2ELi16ELi16ELi1ELi1ELb0ELb1ELi2EiEENS_13DynamicBufferILNS_16AddressSpaceEnumE1EKS2_lLb1ELNS_22AmdBufferCoherenceEnumE0EiEENS5_IJNS36_ILS37_2ES2_S1E_Lb1ELS39_0EiEES3B_EEENS5_IJiiiEEENS4_INS5_IJNS6_INS5_IJiiiiEEENS5_IJiiiSD_EEELb0EEEEEES1K_S1M_S1L_lEENS_32ThreadwiseTensorSliceTransfer_v2IS3_S3_RKS3I_KS1O_NSU_IJLi8ELi1ELi1ELi32EEEENSU_IJLi1ELi2ELi0ELi3EEEELi3ELi32ELi0ELb1ELb0ELb0EEENS36_ILS37_1EKS3_lLb1ELS39_0EiEENS5_IJNS_12StaticBufferILS37_4ES3_Li256ELb1EEES3T_EEES3E_NS_25StaticBufferTupleOfVectorILS37_4EfLi64ELi4ELb1ELb0EEEEEvRKT1_RKT2_RT3_RKT4_RT5_RKT6_RKT7_RT8_RKT9_RT10_RKT11_RT12_i.uses_flat_scratch)
	.set _ZN2ck45kernel_gemm_xdl_cshuffle_v3_b_preshuffle_2ldsINS_41GridwiseGemm_xdl_cshuffle_v3_b_preshuffleINS_13tensor_layout4gemm8RowMajorENS3_11ColumnMajorES4_NS_9f8_fnuz_tENS_7pk_i4_tEfDF16_DF16_NS_16tensor_operation12element_wise11PassThroughESA_SA_LNS8_6device18GemmSpecializationE0ELi256ELi256ELi256ELi128ELi16ELi32ELi16ELi16ELi8ELi8ENS_8SequenceIJLi8ELi32ELi1EEEENSD_IJLi1ELi0ELi2EEEESF_Li2ELi16ELi16ELb0ELi0ENSD_IJLi4ELi64ELi1EEEESF_SF_Li2ELi32ELi32ELb0ELi0ELi1ELi1ENSD_IJLi1ELi32ELi1ELi8EEEELi4ELNS_26BlockGemmPipelineSchedulerE0ELNS_24BlockGemmPipelineVersionE2ES6_S6_Lb0ELb0ELi0EEELb1ELNS_25InMemoryDataOperationEnumE0ELi1ELNS_10TailNumberE1EEEvNT_8ArgumentE.has_dyn_sized_stack, or(0, .L_ZNK2ck52BlockwiseGemmXdlops_pipeline_bpreshuffle_bdequant_v3ILNS_26BlockGemmPipelineSchedulerE0ELi256ENS_9f8_fnuz_tENS_7pk_i4_tES2_fNS_16TensorDescriptorINS_5TupleIJNS_5EmbedINS5_IJNS_17integral_constantIiLi8EEENS7_IiLi256EEENS7_IiLi16EEEEEENS5_IJSA_NS7_IiLi128EEENS7_IiLi1EEEEEELb0EEENS_3XorINS5_IJS9_S8_EEELb1EEENS_11PassThroughISA_EENS_7UnMergeINS5_IJS8_SD_EEELb0EEENSJ_IS9_EESK_NSJ_IS8_EENS_21Merge_v3_division_modINS5_IJS9_SD_EEEEESK_EEENS5_IJNS_8SequenceIJLi0EEEENSU_IJLi2ELi1EEEENSU_IJLi3EEEENSU_IJLi5EEEENSU_IJLi4EEEENSU_IJLi6EEEENSU_IJLi7EEEENSU_IJLi9ELi8EEEENSU_IJLi10EEEEEEENS5_IJNSU_IJLi1ELi2ELi3EEEENSU_IJLi4ELi5EEEES10_NSU_IJLi7ELi8EEEENSU_IJLi9EEEES13_NSU_IJLi11EEEENSU_IJLi12EEEENSU_IJLi13EEEEEEENSU_IJLi11ELi12ELi13EEEENS7_IlLl32768EEEEENS4_INS5_IJNSL_INS5_IJS8_SD_SD_NS7_IiLi32EEEEEELb0EEEEEENS5_IJSV_EEENS5_IJNSU_IJLi1ELi2ELi3ELi4EEEEEEES1L_NS7_IlLl256EEEEENS4_INS5_IJSF_SI_SK_SN_SO_SK_SP_SS_SK_NSQ_INS5_IJS8_SA_EEEEENSL_INS5_IJS8_NS7_IiLi2EEESA_EEELb0EEEEEENS5_IJSV_SW_SX_SY_SZ_S10_S11_S12_S13_NSU_IJLi11ELi13EEEES1A_EEENS5_IJS15_S16_S10_S17_S18_S13_S19_S1A_S1B_NSU_IJLi14EEEENSU_IJLi15ELi16ELi17EEEEEEENSU_IJLi15ELi16ELi17ELi14EEEES1E_EENS4_INS5_IJS1I_NSQ_ISM_EES1T_EEENS5_IJSV_NSU_IJLi1ELi3EEEENSU_IJLi2EEEEEEENS5_IJS1L_SY_NSU_IJLi6ELi7ELi8EEEEEEENSU_IJLi6ELi7ELi8ELi5EEEES1N_EELi16ELi32ELi256ELi256ELi128ELi16ELi16ELi8ELi8ELi32ELb0EE3RunILb1ELNS_10TailNumberE1ENS4_INS5_IJNS6_INS5_IJiiEEENS5_IJiSD_EEELb0EEENSL_IS2E_Lb0EEENSJ_IiEEEEENS5_IJSV_S25_NSU_IJLi1EEEEEEENS5_IJNSU_IJLi1ELi2EEEENSU_IJLi3ELi4EEEESY_EEENSU_IJLi3ELi5ELi4EEEElEES1F_NS_35ThreadGroupTensorSliceTransfer_v4r1INS_15ThisThreadBlockILi256EEENS_16tensor_operation12element_wise11PassThroughES2W_LNS_25InMemoryDataOperationEnumE0ENSU_IJLi8ELi256ELi16EEEENSU_IJLi8ELi32ELi1EEEENSU_IJLi1ELi0ELi2EEEES2_S2_RKS2Q_KS1F_S30_NSU_IJLi0ELi1ELi2EEEELi2ELi2ELi16ELi16ELi1ELi1ELb0ELb1ELi2EiEENS_13DynamicBufferILNS_16AddressSpaceEnumE1EKS2_lLb1ELNS_22AmdBufferCoherenceEnumE0EiEENS5_IJNS36_ILS37_2ES2_S1E_Lb1ELS39_0EiEES3B_EEENS5_IJiiiEEENS4_INS5_IJNS6_INS5_IJiiiiEEENS5_IJiiiSD_EEELb0EEEEEES1K_S1M_S1L_lEENS_32ThreadwiseTensorSliceTransfer_v2IS3_S3_RKS3I_KS1O_NSU_IJLi8ELi1ELi1ELi32EEEENSU_IJLi1ELi2ELi0ELi3EEEELi3ELi32ELi0ELb1ELb0ELb0EEENS36_ILS37_1EKS3_lLb1ELS39_0EiEENS5_IJNS_12StaticBufferILS37_4ES3_Li256ELb1EEES3T_EEES3E_NS_25StaticBufferTupleOfVectorILS37_4EfLi64ELi4ELb1ELb0EEEEEvRKT1_RKT2_RT3_RKT4_RT5_RKT6_RKT7_RT8_RKT9_RT10_RKT11_RT12_i.has_dyn_sized_stack)
	.set _ZN2ck45kernel_gemm_xdl_cshuffle_v3_b_preshuffle_2ldsINS_41GridwiseGemm_xdl_cshuffle_v3_b_preshuffleINS_13tensor_layout4gemm8RowMajorENS3_11ColumnMajorES4_NS_9f8_fnuz_tENS_7pk_i4_tEfDF16_DF16_NS_16tensor_operation12element_wise11PassThroughESA_SA_LNS8_6device18GemmSpecializationE0ELi256ELi256ELi256ELi128ELi16ELi32ELi16ELi16ELi8ELi8ENS_8SequenceIJLi8ELi32ELi1EEEENSD_IJLi1ELi0ELi2EEEESF_Li2ELi16ELi16ELb0ELi0ENSD_IJLi4ELi64ELi1EEEESF_SF_Li2ELi32ELi32ELb0ELi0ELi1ELi1ENSD_IJLi1ELi32ELi1ELi8EEEELi4ELNS_26BlockGemmPipelineSchedulerE0ELNS_24BlockGemmPipelineVersionE2ES6_S6_Lb0ELb0ELi0EEELb1ELNS_25InMemoryDataOperationEnumE0ELi1ELNS_10TailNumberE1EEEvNT_8ArgumentE.has_recursion, or(0, .L_ZNK2ck52BlockwiseGemmXdlops_pipeline_bpreshuffle_bdequant_v3ILNS_26BlockGemmPipelineSchedulerE0ELi256ENS_9f8_fnuz_tENS_7pk_i4_tES2_fNS_16TensorDescriptorINS_5TupleIJNS_5EmbedINS5_IJNS_17integral_constantIiLi8EEENS7_IiLi256EEENS7_IiLi16EEEEEENS5_IJSA_NS7_IiLi128EEENS7_IiLi1EEEEEELb0EEENS_3XorINS5_IJS9_S8_EEELb1EEENS_11PassThroughISA_EENS_7UnMergeINS5_IJS8_SD_EEELb0EEENSJ_IS9_EESK_NSJ_IS8_EENS_21Merge_v3_division_modINS5_IJS9_SD_EEEEESK_EEENS5_IJNS_8SequenceIJLi0EEEENSU_IJLi2ELi1EEEENSU_IJLi3EEEENSU_IJLi5EEEENSU_IJLi4EEEENSU_IJLi6EEEENSU_IJLi7EEEENSU_IJLi9ELi8EEEENSU_IJLi10EEEEEEENS5_IJNSU_IJLi1ELi2ELi3EEEENSU_IJLi4ELi5EEEES10_NSU_IJLi7ELi8EEEENSU_IJLi9EEEES13_NSU_IJLi11EEEENSU_IJLi12EEEENSU_IJLi13EEEEEEENSU_IJLi11ELi12ELi13EEEENS7_IlLl32768EEEEENS4_INS5_IJNSL_INS5_IJS8_SD_SD_NS7_IiLi32EEEEEELb0EEEEEENS5_IJSV_EEENS5_IJNSU_IJLi1ELi2ELi3ELi4EEEEEEES1L_NS7_IlLl256EEEEENS4_INS5_IJSF_SI_SK_SN_SO_SK_SP_SS_SK_NSQ_INS5_IJS8_SA_EEEEENSL_INS5_IJS8_NS7_IiLi2EEESA_EEELb0EEEEEENS5_IJSV_SW_SX_SY_SZ_S10_S11_S12_S13_NSU_IJLi11ELi13EEEES1A_EEENS5_IJS15_S16_S10_S17_S18_S13_S19_S1A_S1B_NSU_IJLi14EEEENSU_IJLi15ELi16ELi17EEEEEEENSU_IJLi15ELi16ELi17ELi14EEEES1E_EENS4_INS5_IJS1I_NSQ_ISM_EES1T_EEENS5_IJSV_NSU_IJLi1ELi3EEEENSU_IJLi2EEEEEEENS5_IJS1L_SY_NSU_IJLi6ELi7ELi8EEEEEEENSU_IJLi6ELi7ELi8ELi5EEEES1N_EELi16ELi32ELi256ELi256ELi128ELi16ELi16ELi8ELi8ELi32ELb0EE3RunILb1ELNS_10TailNumberE1ENS4_INS5_IJNS6_INS5_IJiiEEENS5_IJiSD_EEELb0EEENSL_IS2E_Lb0EEENSJ_IiEEEEENS5_IJSV_S25_NSU_IJLi1EEEEEEENS5_IJNSU_IJLi1ELi2EEEENSU_IJLi3ELi4EEEESY_EEENSU_IJLi3ELi5ELi4EEEElEES1F_NS_35ThreadGroupTensorSliceTransfer_v4r1INS_15ThisThreadBlockILi256EEENS_16tensor_operation12element_wise11PassThroughES2W_LNS_25InMemoryDataOperationEnumE0ENSU_IJLi8ELi256ELi16EEEENSU_IJLi8ELi32ELi1EEEENSU_IJLi1ELi0ELi2EEEES2_S2_RKS2Q_KS1F_S30_NSU_IJLi0ELi1ELi2EEEELi2ELi2ELi16ELi16ELi1ELi1ELb0ELb1ELi2EiEENS_13DynamicBufferILNS_16AddressSpaceEnumE1EKS2_lLb1ELNS_22AmdBufferCoherenceEnumE0EiEENS5_IJNS36_ILS37_2ES2_S1E_Lb1ELS39_0EiEES3B_EEENS5_IJiiiEEENS4_INS5_IJNS6_INS5_IJiiiiEEENS5_IJiiiSD_EEELb0EEEEEES1K_S1M_S1L_lEENS_32ThreadwiseTensorSliceTransfer_v2IS3_S3_RKS3I_KS1O_NSU_IJLi8ELi1ELi1ELi32EEEENSU_IJLi1ELi2ELi0ELi3EEEELi3ELi32ELi0ELb1ELb0ELb0EEENS36_ILS37_1EKS3_lLb1ELS39_0EiEENS5_IJNS_12StaticBufferILS37_4ES3_Li256ELb1EEES3T_EEES3E_NS_25StaticBufferTupleOfVectorILS37_4EfLi64ELi4ELb1ELb0EEEEEvRKT1_RKT2_RT3_RKT4_RT5_RKT6_RKT7_RT8_RKT9_RT10_RKT11_RT12_i.has_recursion)
	.set _ZN2ck45kernel_gemm_xdl_cshuffle_v3_b_preshuffle_2ldsINS_41GridwiseGemm_xdl_cshuffle_v3_b_preshuffleINS_13tensor_layout4gemm8RowMajorENS3_11ColumnMajorES4_NS_9f8_fnuz_tENS_7pk_i4_tEfDF16_DF16_NS_16tensor_operation12element_wise11PassThroughESA_SA_LNS8_6device18GemmSpecializationE0ELi256ELi256ELi256ELi128ELi16ELi32ELi16ELi16ELi8ELi8ENS_8SequenceIJLi8ELi32ELi1EEEENSD_IJLi1ELi0ELi2EEEESF_Li2ELi16ELi16ELb0ELi0ENSD_IJLi4ELi64ELi1EEEESF_SF_Li2ELi32ELi32ELb0ELi0ELi1ELi1ENSD_IJLi1ELi32ELi1ELi8EEEELi4ELNS_26BlockGemmPipelineSchedulerE0ELNS_24BlockGemmPipelineVersionE2ES6_S6_Lb0ELb0ELi0EEELb1ELNS_25InMemoryDataOperationEnumE0ELi1ELNS_10TailNumberE1EEEvNT_8ArgumentE.has_indirect_call, or(0, .L_ZNK2ck52BlockwiseGemmXdlops_pipeline_bpreshuffle_bdequant_v3ILNS_26BlockGemmPipelineSchedulerE0ELi256ENS_9f8_fnuz_tENS_7pk_i4_tES2_fNS_16TensorDescriptorINS_5TupleIJNS_5EmbedINS5_IJNS_17integral_constantIiLi8EEENS7_IiLi256EEENS7_IiLi16EEEEEENS5_IJSA_NS7_IiLi128EEENS7_IiLi1EEEEEELb0EEENS_3XorINS5_IJS9_S8_EEELb1EEENS_11PassThroughISA_EENS_7UnMergeINS5_IJS8_SD_EEELb0EEENSJ_IS9_EESK_NSJ_IS8_EENS_21Merge_v3_division_modINS5_IJS9_SD_EEEEESK_EEENS5_IJNS_8SequenceIJLi0EEEENSU_IJLi2ELi1EEEENSU_IJLi3EEEENSU_IJLi5EEEENSU_IJLi4EEEENSU_IJLi6EEEENSU_IJLi7EEEENSU_IJLi9ELi8EEEENSU_IJLi10EEEEEEENS5_IJNSU_IJLi1ELi2ELi3EEEENSU_IJLi4ELi5EEEES10_NSU_IJLi7ELi8EEEENSU_IJLi9EEEES13_NSU_IJLi11EEEENSU_IJLi12EEEENSU_IJLi13EEEEEEENSU_IJLi11ELi12ELi13EEEENS7_IlLl32768EEEEENS4_INS5_IJNSL_INS5_IJS8_SD_SD_NS7_IiLi32EEEEEELb0EEEEEENS5_IJSV_EEENS5_IJNSU_IJLi1ELi2ELi3ELi4EEEEEEES1L_NS7_IlLl256EEEEENS4_INS5_IJSF_SI_SK_SN_SO_SK_SP_SS_SK_NSQ_INS5_IJS8_SA_EEEEENSL_INS5_IJS8_NS7_IiLi2EEESA_EEELb0EEEEEENS5_IJSV_SW_SX_SY_SZ_S10_S11_S12_S13_NSU_IJLi11ELi13EEEES1A_EEENS5_IJS15_S16_S10_S17_S18_S13_S19_S1A_S1B_NSU_IJLi14EEEENSU_IJLi15ELi16ELi17EEEEEEENSU_IJLi15ELi16ELi17ELi14EEEES1E_EENS4_INS5_IJS1I_NSQ_ISM_EES1T_EEENS5_IJSV_NSU_IJLi1ELi3EEEENSU_IJLi2EEEEEEENS5_IJS1L_SY_NSU_IJLi6ELi7ELi8EEEEEEENSU_IJLi6ELi7ELi8ELi5EEEES1N_EELi16ELi32ELi256ELi256ELi128ELi16ELi16ELi8ELi8ELi32ELb0EE3RunILb1ELNS_10TailNumberE1ENS4_INS5_IJNS6_INS5_IJiiEEENS5_IJiSD_EEELb0EEENSL_IS2E_Lb0EEENSJ_IiEEEEENS5_IJSV_S25_NSU_IJLi1EEEEEEENS5_IJNSU_IJLi1ELi2EEEENSU_IJLi3ELi4EEEESY_EEENSU_IJLi3ELi5ELi4EEEElEES1F_NS_35ThreadGroupTensorSliceTransfer_v4r1INS_15ThisThreadBlockILi256EEENS_16tensor_operation12element_wise11PassThroughES2W_LNS_25InMemoryDataOperationEnumE0ENSU_IJLi8ELi256ELi16EEEENSU_IJLi8ELi32ELi1EEEENSU_IJLi1ELi0ELi2EEEES2_S2_RKS2Q_KS1F_S30_NSU_IJLi0ELi1ELi2EEEELi2ELi2ELi16ELi16ELi1ELi1ELb0ELb1ELi2EiEENS_13DynamicBufferILNS_16AddressSpaceEnumE1EKS2_lLb1ELNS_22AmdBufferCoherenceEnumE0EiEENS5_IJNS36_ILS37_2ES2_S1E_Lb1ELS39_0EiEES3B_EEENS5_IJiiiEEENS4_INS5_IJNS6_INS5_IJiiiiEEENS5_IJiiiSD_EEELb0EEEEEES1K_S1M_S1L_lEENS_32ThreadwiseTensorSliceTransfer_v2IS3_S3_RKS3I_KS1O_NSU_IJLi8ELi1ELi1ELi32EEEENSU_IJLi1ELi2ELi0ELi3EEEELi3ELi32ELi0ELb1ELb0ELb0EEENS36_ILS37_1EKS3_lLb1ELS39_0EiEENS5_IJNS_12StaticBufferILS37_4ES3_Li256ELb1EEES3T_EEES3E_NS_25StaticBufferTupleOfVectorILS37_4EfLi64ELi4ELb1ELb0EEEEEvRKT1_RKT2_RT3_RKT4_RT5_RKT6_RKT7_RT8_RKT9_RT10_RKT11_RT12_i.has_indirect_call)
	.section	.AMDGPU.csdata,"",@progbits
; Kernel info:
; codeLenInByte = 10712
; TotalNumSgprs: 46
; NumVgprs: 256
; NumAgprs: 56
; TotalNumVgprs: 312
; ScratchSize: 3312
; MemoryBound: 0
; FloatMode: 240
; IeeeMode: 1
; LDSByteSize: 65536 bytes/workgroup (compile time only)
; SGPRBlocks: 12
; VGPRBlocks: 38
; NumSGPRsForWavesPerEU: 102
; NumVGPRsForWavesPerEU: 312
; AccumOffset: 256
; Occupancy: 1
; WaveLimiterHint : 1
; COMPUTE_PGM_RSRC2:SCRATCH_EN: 1
; COMPUTE_PGM_RSRC2:USER_SGPR: 2
; COMPUTE_PGM_RSRC2:TRAP_HANDLER: 0
; COMPUTE_PGM_RSRC2:TGID_X_EN: 1
; COMPUTE_PGM_RSRC2:TGID_Y_EN: 0
; COMPUTE_PGM_RSRC2:TGID_Z_EN: 1
; COMPUTE_PGM_RSRC2:TIDIG_COMP_CNT: 0
; COMPUTE_PGM_RSRC3_GFX90A:ACCUM_OFFSET: 63
; COMPUTE_PGM_RSRC3_GFX90A:TG_SPLIT: 0
	.section	.text._ZN2ck45kernel_gemm_xdl_cshuffle_v3_b_preshuffle_2ldsINS_41GridwiseGemm_xdl_cshuffle_v3_b_preshuffleINS_13tensor_layout4gemm8RowMajorENS3_11ColumnMajorES4_NS_9f8_fnuz_tENS_7pk_i4_tEfDF16_DF16_NS_16tensor_operation12element_wise11PassThroughESA_SA_LNS8_6device18GemmSpecializationE0ELi256ELi256ELi256ELi128ELi16ELi32ELi16ELi16ELi8ELi4ENS_8SequenceIJLi8ELi32ELi1EEEENSD_IJLi1ELi0ELi2EEEESF_Li2ELi16ELi16ELb0ELi0ENSD_IJLi4ELi64ELi1EEEESF_SF_Li2ELi32ELi32ELb0ELi0ELi1ELi1ENSD_IJLi1ELi32ELi1ELi8EEEELi4ELNS_26BlockGemmPipelineSchedulerE0ELNS_24BlockGemmPipelineVersionE2ES6_S6_Lb0ELb0ELi0EEELb1ELNS_25InMemoryDataOperationEnumE1ELi1ELNS_10TailNumberE0EEEvNT_8ArgumentE,"axG",@progbits,_ZN2ck45kernel_gemm_xdl_cshuffle_v3_b_preshuffle_2ldsINS_41GridwiseGemm_xdl_cshuffle_v3_b_preshuffleINS_13tensor_layout4gemm8RowMajorENS3_11ColumnMajorES4_NS_9f8_fnuz_tENS_7pk_i4_tEfDF16_DF16_NS_16tensor_operation12element_wise11PassThroughESA_SA_LNS8_6device18GemmSpecializationE0ELi256ELi256ELi256ELi128ELi16ELi32ELi16ELi16ELi8ELi4ENS_8SequenceIJLi8ELi32ELi1EEEENSD_IJLi1ELi0ELi2EEEESF_Li2ELi16ELi16ELb0ELi0ENSD_IJLi4ELi64ELi1EEEESF_SF_Li2ELi32ELi32ELb0ELi0ELi1ELi1ENSD_IJLi1ELi32ELi1ELi8EEEELi4ELNS_26BlockGemmPipelineSchedulerE0ELNS_24BlockGemmPipelineVersionE2ES6_S6_Lb0ELb0ELi0EEELb1ELNS_25InMemoryDataOperationEnumE1ELi1ELNS_10TailNumberE0EEEvNT_8ArgumentE,comdat
	.protected	_ZN2ck45kernel_gemm_xdl_cshuffle_v3_b_preshuffle_2ldsINS_41GridwiseGemm_xdl_cshuffle_v3_b_preshuffleINS_13tensor_layout4gemm8RowMajorENS3_11ColumnMajorES4_NS_9f8_fnuz_tENS_7pk_i4_tEfDF16_DF16_NS_16tensor_operation12element_wise11PassThroughESA_SA_LNS8_6device18GemmSpecializationE0ELi256ELi256ELi256ELi128ELi16ELi32ELi16ELi16ELi8ELi4ENS_8SequenceIJLi8ELi32ELi1EEEENSD_IJLi1ELi0ELi2EEEESF_Li2ELi16ELi16ELb0ELi0ENSD_IJLi4ELi64ELi1EEEESF_SF_Li2ELi32ELi32ELb0ELi0ELi1ELi1ENSD_IJLi1ELi32ELi1ELi8EEEELi4ELNS_26BlockGemmPipelineSchedulerE0ELNS_24BlockGemmPipelineVersionE2ES6_S6_Lb0ELb0ELi0EEELb1ELNS_25InMemoryDataOperationEnumE1ELi1ELNS_10TailNumberE0EEEvNT_8ArgumentE ; -- Begin function _ZN2ck45kernel_gemm_xdl_cshuffle_v3_b_preshuffle_2ldsINS_41GridwiseGemm_xdl_cshuffle_v3_b_preshuffleINS_13tensor_layout4gemm8RowMajorENS3_11ColumnMajorES4_NS_9f8_fnuz_tENS_7pk_i4_tEfDF16_DF16_NS_16tensor_operation12element_wise11PassThroughESA_SA_LNS8_6device18GemmSpecializationE0ELi256ELi256ELi256ELi128ELi16ELi32ELi16ELi16ELi8ELi4ENS_8SequenceIJLi8ELi32ELi1EEEENSD_IJLi1ELi0ELi2EEEESF_Li2ELi16ELi16ELb0ELi0ENSD_IJLi4ELi64ELi1EEEESF_SF_Li2ELi32ELi32ELb0ELi0ELi1ELi1ENSD_IJLi1ELi32ELi1ELi8EEEELi4ELNS_26BlockGemmPipelineSchedulerE0ELNS_24BlockGemmPipelineVersionE2ES6_S6_Lb0ELb0ELi0EEELb1ELNS_25InMemoryDataOperationEnumE1ELi1ELNS_10TailNumberE0EEEvNT_8ArgumentE
	.globl	_ZN2ck45kernel_gemm_xdl_cshuffle_v3_b_preshuffle_2ldsINS_41GridwiseGemm_xdl_cshuffle_v3_b_preshuffleINS_13tensor_layout4gemm8RowMajorENS3_11ColumnMajorES4_NS_9f8_fnuz_tENS_7pk_i4_tEfDF16_DF16_NS_16tensor_operation12element_wise11PassThroughESA_SA_LNS8_6device18GemmSpecializationE0ELi256ELi256ELi256ELi128ELi16ELi32ELi16ELi16ELi8ELi4ENS_8SequenceIJLi8ELi32ELi1EEEENSD_IJLi1ELi0ELi2EEEESF_Li2ELi16ELi16ELb0ELi0ENSD_IJLi4ELi64ELi1EEEESF_SF_Li2ELi32ELi32ELb0ELi0ELi1ELi1ENSD_IJLi1ELi32ELi1ELi8EEEELi4ELNS_26BlockGemmPipelineSchedulerE0ELNS_24BlockGemmPipelineVersionE2ES6_S6_Lb0ELb0ELi0EEELb1ELNS_25InMemoryDataOperationEnumE1ELi1ELNS_10TailNumberE0EEEvNT_8ArgumentE
	.p2align	8
	.type	_ZN2ck45kernel_gemm_xdl_cshuffle_v3_b_preshuffle_2ldsINS_41GridwiseGemm_xdl_cshuffle_v3_b_preshuffleINS_13tensor_layout4gemm8RowMajorENS3_11ColumnMajorES4_NS_9f8_fnuz_tENS_7pk_i4_tEfDF16_DF16_NS_16tensor_operation12element_wise11PassThroughESA_SA_LNS8_6device18GemmSpecializationE0ELi256ELi256ELi256ELi128ELi16ELi32ELi16ELi16ELi8ELi4ENS_8SequenceIJLi8ELi32ELi1EEEENSD_IJLi1ELi0ELi2EEEESF_Li2ELi16ELi16ELb0ELi0ENSD_IJLi4ELi64ELi1EEEESF_SF_Li2ELi32ELi32ELb0ELi0ELi1ELi1ENSD_IJLi1ELi32ELi1ELi8EEEELi4ELNS_26BlockGemmPipelineSchedulerE0ELNS_24BlockGemmPipelineVersionE2ES6_S6_Lb0ELb0ELi0EEELb1ELNS_25InMemoryDataOperationEnumE1ELi1ELNS_10TailNumberE0EEEvNT_8ArgumentE,@function
_ZN2ck45kernel_gemm_xdl_cshuffle_v3_b_preshuffle_2ldsINS_41GridwiseGemm_xdl_cshuffle_v3_b_preshuffleINS_13tensor_layout4gemm8RowMajorENS3_11ColumnMajorES4_NS_9f8_fnuz_tENS_7pk_i4_tEfDF16_DF16_NS_16tensor_operation12element_wise11PassThroughESA_SA_LNS8_6device18GemmSpecializationE0ELi256ELi256ELi256ELi128ELi16ELi32ELi16ELi16ELi8ELi4ENS_8SequenceIJLi8ELi32ELi1EEEENSD_IJLi1ELi0ELi2EEEESF_Li2ELi16ELi16ELb0ELi0ENSD_IJLi4ELi64ELi1EEEESF_SF_Li2ELi32ELi32ELb0ELi0ELi1ELi1ENSD_IJLi1ELi32ELi1ELi8EEEELi4ELNS_26BlockGemmPipelineSchedulerE0ELNS_24BlockGemmPipelineVersionE2ES6_S6_Lb0ELb0ELi0EEELb1ELNS_25InMemoryDataOperationEnumE1ELi1ELNS_10TailNumberE0EEEvNT_8ArgumentE: ; @_ZN2ck45kernel_gemm_xdl_cshuffle_v3_b_preshuffle_2ldsINS_41GridwiseGemm_xdl_cshuffle_v3_b_preshuffleINS_13tensor_layout4gemm8RowMajorENS3_11ColumnMajorES4_NS_9f8_fnuz_tENS_7pk_i4_tEfDF16_DF16_NS_16tensor_operation12element_wise11PassThroughESA_SA_LNS8_6device18GemmSpecializationE0ELi256ELi256ELi256ELi128ELi16ELi32ELi16ELi16ELi8ELi4ENS_8SequenceIJLi8ELi32ELi1EEEENSD_IJLi1ELi0ELi2EEEESF_Li2ELi16ELi16ELb0ELi0ENSD_IJLi4ELi64ELi1EEEESF_SF_Li2ELi32ELi32ELb0ELi0ELi1ELi1ENSD_IJLi1ELi32ELi1ELi8EEEELi4ELNS_26BlockGemmPipelineSchedulerE0ELNS_24BlockGemmPipelineVersionE2ES6_S6_Lb0ELb0ELi0EEELb1ELNS_25InMemoryDataOperationEnumE1ELi1ELNS_10TailNumberE0EEEvNT_8ArgumentE
; %bb.0:
	s_endpgm
	.section	.rodata,"a",@progbits
	.p2align	6, 0x0
	.amdhsa_kernel _ZN2ck45kernel_gemm_xdl_cshuffle_v3_b_preshuffle_2ldsINS_41GridwiseGemm_xdl_cshuffle_v3_b_preshuffleINS_13tensor_layout4gemm8RowMajorENS3_11ColumnMajorES4_NS_9f8_fnuz_tENS_7pk_i4_tEfDF16_DF16_NS_16tensor_operation12element_wise11PassThroughESA_SA_LNS8_6device18GemmSpecializationE0ELi256ELi256ELi256ELi128ELi16ELi32ELi16ELi16ELi8ELi4ENS_8SequenceIJLi8ELi32ELi1EEEENSD_IJLi1ELi0ELi2EEEESF_Li2ELi16ELi16ELb0ELi0ENSD_IJLi4ELi64ELi1EEEESF_SF_Li2ELi32ELi32ELb0ELi0ELi1ELi1ENSD_IJLi1ELi32ELi1ELi8EEEELi4ELNS_26BlockGemmPipelineSchedulerE0ELNS_24BlockGemmPipelineVersionE2ES6_S6_Lb0ELb0ELi0EEELb1ELNS_25InMemoryDataOperationEnumE1ELi1ELNS_10TailNumberE0EEEvNT_8ArgumentE
		.amdhsa_group_segment_fixed_size 0
		.amdhsa_private_segment_fixed_size 0
		.amdhsa_kernarg_size 112
		.amdhsa_user_sgpr_count 2
		.amdhsa_user_sgpr_dispatch_ptr 0
		.amdhsa_user_sgpr_queue_ptr 0
		.amdhsa_user_sgpr_kernarg_segment_ptr 1
		.amdhsa_user_sgpr_dispatch_id 0
		.amdhsa_user_sgpr_kernarg_preload_length 0
		.amdhsa_user_sgpr_kernarg_preload_offset 0
		.amdhsa_user_sgpr_private_segment_size 0
		.amdhsa_uses_dynamic_stack 0
		.amdhsa_enable_private_segment 0
		.amdhsa_system_sgpr_workgroup_id_x 1
		.amdhsa_system_sgpr_workgroup_id_y 0
		.amdhsa_system_sgpr_workgroup_id_z 0
		.amdhsa_system_sgpr_workgroup_info 0
		.amdhsa_system_vgpr_workitem_id 0
		.amdhsa_next_free_vgpr 1
		.amdhsa_next_free_sgpr 0
		.amdhsa_accum_offset 4
		.amdhsa_reserve_vcc 0
		.amdhsa_float_round_mode_32 0
		.amdhsa_float_round_mode_16_64 0
		.amdhsa_float_denorm_mode_32 3
		.amdhsa_float_denorm_mode_16_64 3
		.amdhsa_dx10_clamp 1
		.amdhsa_ieee_mode 1
		.amdhsa_fp16_overflow 0
		.amdhsa_tg_split 0
		.amdhsa_exception_fp_ieee_invalid_op 0
		.amdhsa_exception_fp_denorm_src 0
		.amdhsa_exception_fp_ieee_div_zero 0
		.amdhsa_exception_fp_ieee_overflow 0
		.amdhsa_exception_fp_ieee_underflow 0
		.amdhsa_exception_fp_ieee_inexact 0
		.amdhsa_exception_int_div_zero 0
	.end_amdhsa_kernel
	.section	.text._ZN2ck45kernel_gemm_xdl_cshuffle_v3_b_preshuffle_2ldsINS_41GridwiseGemm_xdl_cshuffle_v3_b_preshuffleINS_13tensor_layout4gemm8RowMajorENS3_11ColumnMajorES4_NS_9f8_fnuz_tENS_7pk_i4_tEfDF16_DF16_NS_16tensor_operation12element_wise11PassThroughESA_SA_LNS8_6device18GemmSpecializationE0ELi256ELi256ELi256ELi128ELi16ELi32ELi16ELi16ELi8ELi4ENS_8SequenceIJLi8ELi32ELi1EEEENSD_IJLi1ELi0ELi2EEEESF_Li2ELi16ELi16ELb0ELi0ENSD_IJLi4ELi64ELi1EEEESF_SF_Li2ELi32ELi32ELb0ELi0ELi1ELi1ENSD_IJLi1ELi32ELi1ELi8EEEELi4ELNS_26BlockGemmPipelineSchedulerE0ELNS_24BlockGemmPipelineVersionE2ES6_S6_Lb0ELb0ELi0EEELb1ELNS_25InMemoryDataOperationEnumE1ELi1ELNS_10TailNumberE0EEEvNT_8ArgumentE,"axG",@progbits,_ZN2ck45kernel_gemm_xdl_cshuffle_v3_b_preshuffle_2ldsINS_41GridwiseGemm_xdl_cshuffle_v3_b_preshuffleINS_13tensor_layout4gemm8RowMajorENS3_11ColumnMajorES4_NS_9f8_fnuz_tENS_7pk_i4_tEfDF16_DF16_NS_16tensor_operation12element_wise11PassThroughESA_SA_LNS8_6device18GemmSpecializationE0ELi256ELi256ELi256ELi128ELi16ELi32ELi16ELi16ELi8ELi4ENS_8SequenceIJLi8ELi32ELi1EEEENSD_IJLi1ELi0ELi2EEEESF_Li2ELi16ELi16ELb0ELi0ENSD_IJLi4ELi64ELi1EEEESF_SF_Li2ELi32ELi32ELb0ELi0ELi1ELi1ENSD_IJLi1ELi32ELi1ELi8EEEELi4ELNS_26BlockGemmPipelineSchedulerE0ELNS_24BlockGemmPipelineVersionE2ES6_S6_Lb0ELb0ELi0EEELb1ELNS_25InMemoryDataOperationEnumE1ELi1ELNS_10TailNumberE0EEEvNT_8ArgumentE,comdat
.Lfunc_end7:
	.size	_ZN2ck45kernel_gemm_xdl_cshuffle_v3_b_preshuffle_2ldsINS_41GridwiseGemm_xdl_cshuffle_v3_b_preshuffleINS_13tensor_layout4gemm8RowMajorENS3_11ColumnMajorES4_NS_9f8_fnuz_tENS_7pk_i4_tEfDF16_DF16_NS_16tensor_operation12element_wise11PassThroughESA_SA_LNS8_6device18GemmSpecializationE0ELi256ELi256ELi256ELi128ELi16ELi32ELi16ELi16ELi8ELi4ENS_8SequenceIJLi8ELi32ELi1EEEENSD_IJLi1ELi0ELi2EEEESF_Li2ELi16ELi16ELb0ELi0ENSD_IJLi4ELi64ELi1EEEESF_SF_Li2ELi32ELi32ELb0ELi0ELi1ELi1ENSD_IJLi1ELi32ELi1ELi8EEEELi4ELNS_26BlockGemmPipelineSchedulerE0ELNS_24BlockGemmPipelineVersionE2ES6_S6_Lb0ELb0ELi0EEELb1ELNS_25InMemoryDataOperationEnumE1ELi1ELNS_10TailNumberE0EEEvNT_8ArgumentE, .Lfunc_end7-_ZN2ck45kernel_gemm_xdl_cshuffle_v3_b_preshuffle_2ldsINS_41GridwiseGemm_xdl_cshuffle_v3_b_preshuffleINS_13tensor_layout4gemm8RowMajorENS3_11ColumnMajorES4_NS_9f8_fnuz_tENS_7pk_i4_tEfDF16_DF16_NS_16tensor_operation12element_wise11PassThroughESA_SA_LNS8_6device18GemmSpecializationE0ELi256ELi256ELi256ELi128ELi16ELi32ELi16ELi16ELi8ELi4ENS_8SequenceIJLi8ELi32ELi1EEEENSD_IJLi1ELi0ELi2EEEESF_Li2ELi16ELi16ELb0ELi0ENSD_IJLi4ELi64ELi1EEEESF_SF_Li2ELi32ELi32ELb0ELi0ELi1ELi1ENSD_IJLi1ELi32ELi1ELi8EEEELi4ELNS_26BlockGemmPipelineSchedulerE0ELNS_24BlockGemmPipelineVersionE2ES6_S6_Lb0ELb0ELi0EEELb1ELNS_25InMemoryDataOperationEnumE1ELi1ELNS_10TailNumberE0EEEvNT_8ArgumentE
                                        ; -- End function
	.set _ZN2ck45kernel_gemm_xdl_cshuffle_v3_b_preshuffle_2ldsINS_41GridwiseGemm_xdl_cshuffle_v3_b_preshuffleINS_13tensor_layout4gemm8RowMajorENS3_11ColumnMajorES4_NS_9f8_fnuz_tENS_7pk_i4_tEfDF16_DF16_NS_16tensor_operation12element_wise11PassThroughESA_SA_LNS8_6device18GemmSpecializationE0ELi256ELi256ELi256ELi128ELi16ELi32ELi16ELi16ELi8ELi4ENS_8SequenceIJLi8ELi32ELi1EEEENSD_IJLi1ELi0ELi2EEEESF_Li2ELi16ELi16ELb0ELi0ENSD_IJLi4ELi64ELi1EEEESF_SF_Li2ELi32ELi32ELb0ELi0ELi1ELi1ENSD_IJLi1ELi32ELi1ELi8EEEELi4ELNS_26BlockGemmPipelineSchedulerE0ELNS_24BlockGemmPipelineVersionE2ES6_S6_Lb0ELb0ELi0EEELb1ELNS_25InMemoryDataOperationEnumE1ELi1ELNS_10TailNumberE0EEEvNT_8ArgumentE.num_vgpr, 0
	.set _ZN2ck45kernel_gemm_xdl_cshuffle_v3_b_preshuffle_2ldsINS_41GridwiseGemm_xdl_cshuffle_v3_b_preshuffleINS_13tensor_layout4gemm8RowMajorENS3_11ColumnMajorES4_NS_9f8_fnuz_tENS_7pk_i4_tEfDF16_DF16_NS_16tensor_operation12element_wise11PassThroughESA_SA_LNS8_6device18GemmSpecializationE0ELi256ELi256ELi256ELi128ELi16ELi32ELi16ELi16ELi8ELi4ENS_8SequenceIJLi8ELi32ELi1EEEENSD_IJLi1ELi0ELi2EEEESF_Li2ELi16ELi16ELb0ELi0ENSD_IJLi4ELi64ELi1EEEESF_SF_Li2ELi32ELi32ELb0ELi0ELi1ELi1ENSD_IJLi1ELi32ELi1ELi8EEEELi4ELNS_26BlockGemmPipelineSchedulerE0ELNS_24BlockGemmPipelineVersionE2ES6_S6_Lb0ELb0ELi0EEELb1ELNS_25InMemoryDataOperationEnumE1ELi1ELNS_10TailNumberE0EEEvNT_8ArgumentE.num_agpr, 0
	.set _ZN2ck45kernel_gemm_xdl_cshuffle_v3_b_preshuffle_2ldsINS_41GridwiseGemm_xdl_cshuffle_v3_b_preshuffleINS_13tensor_layout4gemm8RowMajorENS3_11ColumnMajorES4_NS_9f8_fnuz_tENS_7pk_i4_tEfDF16_DF16_NS_16tensor_operation12element_wise11PassThroughESA_SA_LNS8_6device18GemmSpecializationE0ELi256ELi256ELi256ELi128ELi16ELi32ELi16ELi16ELi8ELi4ENS_8SequenceIJLi8ELi32ELi1EEEENSD_IJLi1ELi0ELi2EEEESF_Li2ELi16ELi16ELb0ELi0ENSD_IJLi4ELi64ELi1EEEESF_SF_Li2ELi32ELi32ELb0ELi0ELi1ELi1ENSD_IJLi1ELi32ELi1ELi8EEEELi4ELNS_26BlockGemmPipelineSchedulerE0ELNS_24BlockGemmPipelineVersionE2ES6_S6_Lb0ELb0ELi0EEELb1ELNS_25InMemoryDataOperationEnumE1ELi1ELNS_10TailNumberE0EEEvNT_8ArgumentE.numbered_sgpr, 0
	.set _ZN2ck45kernel_gemm_xdl_cshuffle_v3_b_preshuffle_2ldsINS_41GridwiseGemm_xdl_cshuffle_v3_b_preshuffleINS_13tensor_layout4gemm8RowMajorENS3_11ColumnMajorES4_NS_9f8_fnuz_tENS_7pk_i4_tEfDF16_DF16_NS_16tensor_operation12element_wise11PassThroughESA_SA_LNS8_6device18GemmSpecializationE0ELi256ELi256ELi256ELi128ELi16ELi32ELi16ELi16ELi8ELi4ENS_8SequenceIJLi8ELi32ELi1EEEENSD_IJLi1ELi0ELi2EEEESF_Li2ELi16ELi16ELb0ELi0ENSD_IJLi4ELi64ELi1EEEESF_SF_Li2ELi32ELi32ELb0ELi0ELi1ELi1ENSD_IJLi1ELi32ELi1ELi8EEEELi4ELNS_26BlockGemmPipelineSchedulerE0ELNS_24BlockGemmPipelineVersionE2ES6_S6_Lb0ELb0ELi0EEELb1ELNS_25InMemoryDataOperationEnumE1ELi1ELNS_10TailNumberE0EEEvNT_8ArgumentE.num_named_barrier, 0
	.set _ZN2ck45kernel_gemm_xdl_cshuffle_v3_b_preshuffle_2ldsINS_41GridwiseGemm_xdl_cshuffle_v3_b_preshuffleINS_13tensor_layout4gemm8RowMajorENS3_11ColumnMajorES4_NS_9f8_fnuz_tENS_7pk_i4_tEfDF16_DF16_NS_16tensor_operation12element_wise11PassThroughESA_SA_LNS8_6device18GemmSpecializationE0ELi256ELi256ELi256ELi128ELi16ELi32ELi16ELi16ELi8ELi4ENS_8SequenceIJLi8ELi32ELi1EEEENSD_IJLi1ELi0ELi2EEEESF_Li2ELi16ELi16ELb0ELi0ENSD_IJLi4ELi64ELi1EEEESF_SF_Li2ELi32ELi32ELb0ELi0ELi1ELi1ENSD_IJLi1ELi32ELi1ELi8EEEELi4ELNS_26BlockGemmPipelineSchedulerE0ELNS_24BlockGemmPipelineVersionE2ES6_S6_Lb0ELb0ELi0EEELb1ELNS_25InMemoryDataOperationEnumE1ELi1ELNS_10TailNumberE0EEEvNT_8ArgumentE.private_seg_size, 0
	.set _ZN2ck45kernel_gemm_xdl_cshuffle_v3_b_preshuffle_2ldsINS_41GridwiseGemm_xdl_cshuffle_v3_b_preshuffleINS_13tensor_layout4gemm8RowMajorENS3_11ColumnMajorES4_NS_9f8_fnuz_tENS_7pk_i4_tEfDF16_DF16_NS_16tensor_operation12element_wise11PassThroughESA_SA_LNS8_6device18GemmSpecializationE0ELi256ELi256ELi256ELi128ELi16ELi32ELi16ELi16ELi8ELi4ENS_8SequenceIJLi8ELi32ELi1EEEENSD_IJLi1ELi0ELi2EEEESF_Li2ELi16ELi16ELb0ELi0ENSD_IJLi4ELi64ELi1EEEESF_SF_Li2ELi32ELi32ELb0ELi0ELi1ELi1ENSD_IJLi1ELi32ELi1ELi8EEEELi4ELNS_26BlockGemmPipelineSchedulerE0ELNS_24BlockGemmPipelineVersionE2ES6_S6_Lb0ELb0ELi0EEELb1ELNS_25InMemoryDataOperationEnumE1ELi1ELNS_10TailNumberE0EEEvNT_8ArgumentE.uses_vcc, 0
	.set _ZN2ck45kernel_gemm_xdl_cshuffle_v3_b_preshuffle_2ldsINS_41GridwiseGemm_xdl_cshuffle_v3_b_preshuffleINS_13tensor_layout4gemm8RowMajorENS3_11ColumnMajorES4_NS_9f8_fnuz_tENS_7pk_i4_tEfDF16_DF16_NS_16tensor_operation12element_wise11PassThroughESA_SA_LNS8_6device18GemmSpecializationE0ELi256ELi256ELi256ELi128ELi16ELi32ELi16ELi16ELi8ELi4ENS_8SequenceIJLi8ELi32ELi1EEEENSD_IJLi1ELi0ELi2EEEESF_Li2ELi16ELi16ELb0ELi0ENSD_IJLi4ELi64ELi1EEEESF_SF_Li2ELi32ELi32ELb0ELi0ELi1ELi1ENSD_IJLi1ELi32ELi1ELi8EEEELi4ELNS_26BlockGemmPipelineSchedulerE0ELNS_24BlockGemmPipelineVersionE2ES6_S6_Lb0ELb0ELi0EEELb1ELNS_25InMemoryDataOperationEnumE1ELi1ELNS_10TailNumberE0EEEvNT_8ArgumentE.uses_flat_scratch, 0
	.set _ZN2ck45kernel_gemm_xdl_cshuffle_v3_b_preshuffle_2ldsINS_41GridwiseGemm_xdl_cshuffle_v3_b_preshuffleINS_13tensor_layout4gemm8RowMajorENS3_11ColumnMajorES4_NS_9f8_fnuz_tENS_7pk_i4_tEfDF16_DF16_NS_16tensor_operation12element_wise11PassThroughESA_SA_LNS8_6device18GemmSpecializationE0ELi256ELi256ELi256ELi128ELi16ELi32ELi16ELi16ELi8ELi4ENS_8SequenceIJLi8ELi32ELi1EEEENSD_IJLi1ELi0ELi2EEEESF_Li2ELi16ELi16ELb0ELi0ENSD_IJLi4ELi64ELi1EEEESF_SF_Li2ELi32ELi32ELb0ELi0ELi1ELi1ENSD_IJLi1ELi32ELi1ELi8EEEELi4ELNS_26BlockGemmPipelineSchedulerE0ELNS_24BlockGemmPipelineVersionE2ES6_S6_Lb0ELb0ELi0EEELb1ELNS_25InMemoryDataOperationEnumE1ELi1ELNS_10TailNumberE0EEEvNT_8ArgumentE.has_dyn_sized_stack, 0
	.set _ZN2ck45kernel_gemm_xdl_cshuffle_v3_b_preshuffle_2ldsINS_41GridwiseGemm_xdl_cshuffle_v3_b_preshuffleINS_13tensor_layout4gemm8RowMajorENS3_11ColumnMajorES4_NS_9f8_fnuz_tENS_7pk_i4_tEfDF16_DF16_NS_16tensor_operation12element_wise11PassThroughESA_SA_LNS8_6device18GemmSpecializationE0ELi256ELi256ELi256ELi128ELi16ELi32ELi16ELi16ELi8ELi4ENS_8SequenceIJLi8ELi32ELi1EEEENSD_IJLi1ELi0ELi2EEEESF_Li2ELi16ELi16ELb0ELi0ENSD_IJLi4ELi64ELi1EEEESF_SF_Li2ELi32ELi32ELb0ELi0ELi1ELi1ENSD_IJLi1ELi32ELi1ELi8EEEELi4ELNS_26BlockGemmPipelineSchedulerE0ELNS_24BlockGemmPipelineVersionE2ES6_S6_Lb0ELb0ELi0EEELb1ELNS_25InMemoryDataOperationEnumE1ELi1ELNS_10TailNumberE0EEEvNT_8ArgumentE.has_recursion, 0
	.set _ZN2ck45kernel_gemm_xdl_cshuffle_v3_b_preshuffle_2ldsINS_41GridwiseGemm_xdl_cshuffle_v3_b_preshuffleINS_13tensor_layout4gemm8RowMajorENS3_11ColumnMajorES4_NS_9f8_fnuz_tENS_7pk_i4_tEfDF16_DF16_NS_16tensor_operation12element_wise11PassThroughESA_SA_LNS8_6device18GemmSpecializationE0ELi256ELi256ELi256ELi128ELi16ELi32ELi16ELi16ELi8ELi4ENS_8SequenceIJLi8ELi32ELi1EEEENSD_IJLi1ELi0ELi2EEEESF_Li2ELi16ELi16ELb0ELi0ENSD_IJLi4ELi64ELi1EEEESF_SF_Li2ELi32ELi32ELb0ELi0ELi1ELi1ENSD_IJLi1ELi32ELi1ELi8EEEELi4ELNS_26BlockGemmPipelineSchedulerE0ELNS_24BlockGemmPipelineVersionE2ES6_S6_Lb0ELb0ELi0EEELb1ELNS_25InMemoryDataOperationEnumE1ELi1ELNS_10TailNumberE0EEEvNT_8ArgumentE.has_indirect_call, 0
	.section	.AMDGPU.csdata,"",@progbits
; Kernel info:
; codeLenInByte = 4
; TotalNumSgprs: 6
; NumVgprs: 0
; NumAgprs: 0
; TotalNumVgprs: 0
; ScratchSize: 0
; MemoryBound: 0
; FloatMode: 240
; IeeeMode: 1
; LDSByteSize: 0 bytes/workgroup (compile time only)
; SGPRBlocks: 0
; VGPRBlocks: 0
; NumSGPRsForWavesPerEU: 6
; NumVGPRsForWavesPerEU: 1
; AccumOffset: 4
; Occupancy: 8
; WaveLimiterHint : 0
; COMPUTE_PGM_RSRC2:SCRATCH_EN: 0
; COMPUTE_PGM_RSRC2:USER_SGPR: 2
; COMPUTE_PGM_RSRC2:TRAP_HANDLER: 0
; COMPUTE_PGM_RSRC2:TGID_X_EN: 1
; COMPUTE_PGM_RSRC2:TGID_Y_EN: 0
; COMPUTE_PGM_RSRC2:TGID_Z_EN: 0
; COMPUTE_PGM_RSRC2:TIDIG_COMP_CNT: 0
; COMPUTE_PGM_RSRC3_GFX90A:ACCUM_OFFSET: 0
; COMPUTE_PGM_RSRC3_GFX90A:TG_SPLIT: 0
	.section	.text._ZN2ck45kernel_gemm_xdl_cshuffle_v3_b_preshuffle_2ldsINS_41GridwiseGemm_xdl_cshuffle_v3_b_preshuffleINS_13tensor_layout4gemm8RowMajorENS3_11ColumnMajorES4_NS_9f8_fnuz_tENS_7pk_i4_tEfDF16_DF16_NS_16tensor_operation12element_wise11PassThroughESA_SA_LNS8_6device18GemmSpecializationE0ELi256ELi256ELi256ELi128ELi16ELi32ELi16ELi16ELi8ELi4ENS_8SequenceIJLi8ELi32ELi1EEEENSD_IJLi1ELi0ELi2EEEESF_Li2ELi16ELi16ELb0ELi0ENSD_IJLi4ELi64ELi1EEEESF_SF_Li2ELi32ELi32ELb0ELi0ELi1ELi1ENSD_IJLi1ELi32ELi1ELi8EEEELi4ELNS_26BlockGemmPipelineSchedulerE0ELNS_24BlockGemmPipelineVersionE2ES6_S6_Lb0ELb0ELi0EEELb1ELNS_25InMemoryDataOperationEnumE1ELi1ELNS_10TailNumberE1EEEvNT_8ArgumentE,"axG",@progbits,_ZN2ck45kernel_gemm_xdl_cshuffle_v3_b_preshuffle_2ldsINS_41GridwiseGemm_xdl_cshuffle_v3_b_preshuffleINS_13tensor_layout4gemm8RowMajorENS3_11ColumnMajorES4_NS_9f8_fnuz_tENS_7pk_i4_tEfDF16_DF16_NS_16tensor_operation12element_wise11PassThroughESA_SA_LNS8_6device18GemmSpecializationE0ELi256ELi256ELi256ELi128ELi16ELi32ELi16ELi16ELi8ELi4ENS_8SequenceIJLi8ELi32ELi1EEEENSD_IJLi1ELi0ELi2EEEESF_Li2ELi16ELi16ELb0ELi0ENSD_IJLi4ELi64ELi1EEEESF_SF_Li2ELi32ELi32ELb0ELi0ELi1ELi1ENSD_IJLi1ELi32ELi1ELi8EEEELi4ELNS_26BlockGemmPipelineSchedulerE0ELNS_24BlockGemmPipelineVersionE2ES6_S6_Lb0ELb0ELi0EEELb1ELNS_25InMemoryDataOperationEnumE1ELi1ELNS_10TailNumberE1EEEvNT_8ArgumentE,comdat
	.protected	_ZN2ck45kernel_gemm_xdl_cshuffle_v3_b_preshuffle_2ldsINS_41GridwiseGemm_xdl_cshuffle_v3_b_preshuffleINS_13tensor_layout4gemm8RowMajorENS3_11ColumnMajorES4_NS_9f8_fnuz_tENS_7pk_i4_tEfDF16_DF16_NS_16tensor_operation12element_wise11PassThroughESA_SA_LNS8_6device18GemmSpecializationE0ELi256ELi256ELi256ELi128ELi16ELi32ELi16ELi16ELi8ELi4ENS_8SequenceIJLi8ELi32ELi1EEEENSD_IJLi1ELi0ELi2EEEESF_Li2ELi16ELi16ELb0ELi0ENSD_IJLi4ELi64ELi1EEEESF_SF_Li2ELi32ELi32ELb0ELi0ELi1ELi1ENSD_IJLi1ELi32ELi1ELi8EEEELi4ELNS_26BlockGemmPipelineSchedulerE0ELNS_24BlockGemmPipelineVersionE2ES6_S6_Lb0ELb0ELi0EEELb1ELNS_25InMemoryDataOperationEnumE1ELi1ELNS_10TailNumberE1EEEvNT_8ArgumentE ; -- Begin function _ZN2ck45kernel_gemm_xdl_cshuffle_v3_b_preshuffle_2ldsINS_41GridwiseGemm_xdl_cshuffle_v3_b_preshuffleINS_13tensor_layout4gemm8RowMajorENS3_11ColumnMajorES4_NS_9f8_fnuz_tENS_7pk_i4_tEfDF16_DF16_NS_16tensor_operation12element_wise11PassThroughESA_SA_LNS8_6device18GemmSpecializationE0ELi256ELi256ELi256ELi128ELi16ELi32ELi16ELi16ELi8ELi4ENS_8SequenceIJLi8ELi32ELi1EEEENSD_IJLi1ELi0ELi2EEEESF_Li2ELi16ELi16ELb0ELi0ENSD_IJLi4ELi64ELi1EEEESF_SF_Li2ELi32ELi32ELb0ELi0ELi1ELi1ENSD_IJLi1ELi32ELi1ELi8EEEELi4ELNS_26BlockGemmPipelineSchedulerE0ELNS_24BlockGemmPipelineVersionE2ES6_S6_Lb0ELb0ELi0EEELb1ELNS_25InMemoryDataOperationEnumE1ELi1ELNS_10TailNumberE1EEEvNT_8ArgumentE
	.globl	_ZN2ck45kernel_gemm_xdl_cshuffle_v3_b_preshuffle_2ldsINS_41GridwiseGemm_xdl_cshuffle_v3_b_preshuffleINS_13tensor_layout4gemm8RowMajorENS3_11ColumnMajorES4_NS_9f8_fnuz_tENS_7pk_i4_tEfDF16_DF16_NS_16tensor_operation12element_wise11PassThroughESA_SA_LNS8_6device18GemmSpecializationE0ELi256ELi256ELi256ELi128ELi16ELi32ELi16ELi16ELi8ELi4ENS_8SequenceIJLi8ELi32ELi1EEEENSD_IJLi1ELi0ELi2EEEESF_Li2ELi16ELi16ELb0ELi0ENSD_IJLi4ELi64ELi1EEEESF_SF_Li2ELi32ELi32ELb0ELi0ELi1ELi1ENSD_IJLi1ELi32ELi1ELi8EEEELi4ELNS_26BlockGemmPipelineSchedulerE0ELNS_24BlockGemmPipelineVersionE2ES6_S6_Lb0ELb0ELi0EEELb1ELNS_25InMemoryDataOperationEnumE1ELi1ELNS_10TailNumberE1EEEvNT_8ArgumentE
	.p2align	8
	.type	_ZN2ck45kernel_gemm_xdl_cshuffle_v3_b_preshuffle_2ldsINS_41GridwiseGemm_xdl_cshuffle_v3_b_preshuffleINS_13tensor_layout4gemm8RowMajorENS3_11ColumnMajorES4_NS_9f8_fnuz_tENS_7pk_i4_tEfDF16_DF16_NS_16tensor_operation12element_wise11PassThroughESA_SA_LNS8_6device18GemmSpecializationE0ELi256ELi256ELi256ELi128ELi16ELi32ELi16ELi16ELi8ELi4ENS_8SequenceIJLi8ELi32ELi1EEEENSD_IJLi1ELi0ELi2EEEESF_Li2ELi16ELi16ELb0ELi0ENSD_IJLi4ELi64ELi1EEEESF_SF_Li2ELi32ELi32ELb0ELi0ELi1ELi1ENSD_IJLi1ELi32ELi1ELi8EEEELi4ELNS_26BlockGemmPipelineSchedulerE0ELNS_24BlockGemmPipelineVersionE2ES6_S6_Lb0ELb0ELi0EEELb1ELNS_25InMemoryDataOperationEnumE1ELi1ELNS_10TailNumberE1EEEvNT_8ArgumentE,@function
_ZN2ck45kernel_gemm_xdl_cshuffle_v3_b_preshuffle_2ldsINS_41GridwiseGemm_xdl_cshuffle_v3_b_preshuffleINS_13tensor_layout4gemm8RowMajorENS3_11ColumnMajorES4_NS_9f8_fnuz_tENS_7pk_i4_tEfDF16_DF16_NS_16tensor_operation12element_wise11PassThroughESA_SA_LNS8_6device18GemmSpecializationE0ELi256ELi256ELi256ELi128ELi16ELi32ELi16ELi16ELi8ELi4ENS_8SequenceIJLi8ELi32ELi1EEEENSD_IJLi1ELi0ELi2EEEESF_Li2ELi16ELi16ELb0ELi0ENSD_IJLi4ELi64ELi1EEEESF_SF_Li2ELi32ELi32ELb0ELi0ELi1ELi1ENSD_IJLi1ELi32ELi1ELi8EEEELi4ELNS_26BlockGemmPipelineSchedulerE0ELNS_24BlockGemmPipelineVersionE2ES6_S6_Lb0ELb0ELi0EEELb1ELNS_25InMemoryDataOperationEnumE1ELi1ELNS_10TailNumberE1EEEvNT_8ArgumentE: ; @_ZN2ck45kernel_gemm_xdl_cshuffle_v3_b_preshuffle_2ldsINS_41GridwiseGemm_xdl_cshuffle_v3_b_preshuffleINS_13tensor_layout4gemm8RowMajorENS3_11ColumnMajorES4_NS_9f8_fnuz_tENS_7pk_i4_tEfDF16_DF16_NS_16tensor_operation12element_wise11PassThroughESA_SA_LNS8_6device18GemmSpecializationE0ELi256ELi256ELi256ELi128ELi16ELi32ELi16ELi16ELi8ELi4ENS_8SequenceIJLi8ELi32ELi1EEEENSD_IJLi1ELi0ELi2EEEESF_Li2ELi16ELi16ELb0ELi0ENSD_IJLi4ELi64ELi1EEEESF_SF_Li2ELi32ELi32ELb0ELi0ELi1ELi1ENSD_IJLi1ELi32ELi1ELi8EEEELi4ELNS_26BlockGemmPipelineSchedulerE0ELNS_24BlockGemmPipelineVersionE2ES6_S6_Lb0ELb0ELi0EEELb1ELNS_25InMemoryDataOperationEnumE1ELi1ELNS_10TailNumberE1EEEvNT_8ArgumentE
; %bb.0:
	s_endpgm
	.section	.rodata,"a",@progbits
	.p2align	6, 0x0
	.amdhsa_kernel _ZN2ck45kernel_gemm_xdl_cshuffle_v3_b_preshuffle_2ldsINS_41GridwiseGemm_xdl_cshuffle_v3_b_preshuffleINS_13tensor_layout4gemm8RowMajorENS3_11ColumnMajorES4_NS_9f8_fnuz_tENS_7pk_i4_tEfDF16_DF16_NS_16tensor_operation12element_wise11PassThroughESA_SA_LNS8_6device18GemmSpecializationE0ELi256ELi256ELi256ELi128ELi16ELi32ELi16ELi16ELi8ELi4ENS_8SequenceIJLi8ELi32ELi1EEEENSD_IJLi1ELi0ELi2EEEESF_Li2ELi16ELi16ELb0ELi0ENSD_IJLi4ELi64ELi1EEEESF_SF_Li2ELi32ELi32ELb0ELi0ELi1ELi1ENSD_IJLi1ELi32ELi1ELi8EEEELi4ELNS_26BlockGemmPipelineSchedulerE0ELNS_24BlockGemmPipelineVersionE2ES6_S6_Lb0ELb0ELi0EEELb1ELNS_25InMemoryDataOperationEnumE1ELi1ELNS_10TailNumberE1EEEvNT_8ArgumentE
		.amdhsa_group_segment_fixed_size 0
		.amdhsa_private_segment_fixed_size 0
		.amdhsa_kernarg_size 112
		.amdhsa_user_sgpr_count 2
		.amdhsa_user_sgpr_dispatch_ptr 0
		.amdhsa_user_sgpr_queue_ptr 0
		.amdhsa_user_sgpr_kernarg_segment_ptr 1
		.amdhsa_user_sgpr_dispatch_id 0
		.amdhsa_user_sgpr_kernarg_preload_length 0
		.amdhsa_user_sgpr_kernarg_preload_offset 0
		.amdhsa_user_sgpr_private_segment_size 0
		.amdhsa_uses_dynamic_stack 0
		.amdhsa_enable_private_segment 0
		.amdhsa_system_sgpr_workgroup_id_x 1
		.amdhsa_system_sgpr_workgroup_id_y 0
		.amdhsa_system_sgpr_workgroup_id_z 0
		.amdhsa_system_sgpr_workgroup_info 0
		.amdhsa_system_vgpr_workitem_id 0
		.amdhsa_next_free_vgpr 1
		.amdhsa_next_free_sgpr 0
		.amdhsa_accum_offset 4
		.amdhsa_reserve_vcc 0
		.amdhsa_float_round_mode_32 0
		.amdhsa_float_round_mode_16_64 0
		.amdhsa_float_denorm_mode_32 3
		.amdhsa_float_denorm_mode_16_64 3
		.amdhsa_dx10_clamp 1
		.amdhsa_ieee_mode 1
		.amdhsa_fp16_overflow 0
		.amdhsa_tg_split 0
		.amdhsa_exception_fp_ieee_invalid_op 0
		.amdhsa_exception_fp_denorm_src 0
		.amdhsa_exception_fp_ieee_div_zero 0
		.amdhsa_exception_fp_ieee_overflow 0
		.amdhsa_exception_fp_ieee_underflow 0
		.amdhsa_exception_fp_ieee_inexact 0
		.amdhsa_exception_int_div_zero 0
	.end_amdhsa_kernel
	.section	.text._ZN2ck45kernel_gemm_xdl_cshuffle_v3_b_preshuffle_2ldsINS_41GridwiseGemm_xdl_cshuffle_v3_b_preshuffleINS_13tensor_layout4gemm8RowMajorENS3_11ColumnMajorES4_NS_9f8_fnuz_tENS_7pk_i4_tEfDF16_DF16_NS_16tensor_operation12element_wise11PassThroughESA_SA_LNS8_6device18GemmSpecializationE0ELi256ELi256ELi256ELi128ELi16ELi32ELi16ELi16ELi8ELi4ENS_8SequenceIJLi8ELi32ELi1EEEENSD_IJLi1ELi0ELi2EEEESF_Li2ELi16ELi16ELb0ELi0ENSD_IJLi4ELi64ELi1EEEESF_SF_Li2ELi32ELi32ELb0ELi0ELi1ELi1ENSD_IJLi1ELi32ELi1ELi8EEEELi4ELNS_26BlockGemmPipelineSchedulerE0ELNS_24BlockGemmPipelineVersionE2ES6_S6_Lb0ELb0ELi0EEELb1ELNS_25InMemoryDataOperationEnumE1ELi1ELNS_10TailNumberE1EEEvNT_8ArgumentE,"axG",@progbits,_ZN2ck45kernel_gemm_xdl_cshuffle_v3_b_preshuffle_2ldsINS_41GridwiseGemm_xdl_cshuffle_v3_b_preshuffleINS_13tensor_layout4gemm8RowMajorENS3_11ColumnMajorES4_NS_9f8_fnuz_tENS_7pk_i4_tEfDF16_DF16_NS_16tensor_operation12element_wise11PassThroughESA_SA_LNS8_6device18GemmSpecializationE0ELi256ELi256ELi256ELi128ELi16ELi32ELi16ELi16ELi8ELi4ENS_8SequenceIJLi8ELi32ELi1EEEENSD_IJLi1ELi0ELi2EEEESF_Li2ELi16ELi16ELb0ELi0ENSD_IJLi4ELi64ELi1EEEESF_SF_Li2ELi32ELi32ELb0ELi0ELi1ELi1ENSD_IJLi1ELi32ELi1ELi8EEEELi4ELNS_26BlockGemmPipelineSchedulerE0ELNS_24BlockGemmPipelineVersionE2ES6_S6_Lb0ELb0ELi0EEELb1ELNS_25InMemoryDataOperationEnumE1ELi1ELNS_10TailNumberE1EEEvNT_8ArgumentE,comdat
.Lfunc_end8:
	.size	_ZN2ck45kernel_gemm_xdl_cshuffle_v3_b_preshuffle_2ldsINS_41GridwiseGemm_xdl_cshuffle_v3_b_preshuffleINS_13tensor_layout4gemm8RowMajorENS3_11ColumnMajorES4_NS_9f8_fnuz_tENS_7pk_i4_tEfDF16_DF16_NS_16tensor_operation12element_wise11PassThroughESA_SA_LNS8_6device18GemmSpecializationE0ELi256ELi256ELi256ELi128ELi16ELi32ELi16ELi16ELi8ELi4ENS_8SequenceIJLi8ELi32ELi1EEEENSD_IJLi1ELi0ELi2EEEESF_Li2ELi16ELi16ELb0ELi0ENSD_IJLi4ELi64ELi1EEEESF_SF_Li2ELi32ELi32ELb0ELi0ELi1ELi1ENSD_IJLi1ELi32ELi1ELi8EEEELi4ELNS_26BlockGemmPipelineSchedulerE0ELNS_24BlockGemmPipelineVersionE2ES6_S6_Lb0ELb0ELi0EEELb1ELNS_25InMemoryDataOperationEnumE1ELi1ELNS_10TailNumberE1EEEvNT_8ArgumentE, .Lfunc_end8-_ZN2ck45kernel_gemm_xdl_cshuffle_v3_b_preshuffle_2ldsINS_41GridwiseGemm_xdl_cshuffle_v3_b_preshuffleINS_13tensor_layout4gemm8RowMajorENS3_11ColumnMajorES4_NS_9f8_fnuz_tENS_7pk_i4_tEfDF16_DF16_NS_16tensor_operation12element_wise11PassThroughESA_SA_LNS8_6device18GemmSpecializationE0ELi256ELi256ELi256ELi128ELi16ELi32ELi16ELi16ELi8ELi4ENS_8SequenceIJLi8ELi32ELi1EEEENSD_IJLi1ELi0ELi2EEEESF_Li2ELi16ELi16ELb0ELi0ENSD_IJLi4ELi64ELi1EEEESF_SF_Li2ELi32ELi32ELb0ELi0ELi1ELi1ENSD_IJLi1ELi32ELi1ELi8EEEELi4ELNS_26BlockGemmPipelineSchedulerE0ELNS_24BlockGemmPipelineVersionE2ES6_S6_Lb0ELb0ELi0EEELb1ELNS_25InMemoryDataOperationEnumE1ELi1ELNS_10TailNumberE1EEEvNT_8ArgumentE
                                        ; -- End function
	.set _ZN2ck45kernel_gemm_xdl_cshuffle_v3_b_preshuffle_2ldsINS_41GridwiseGemm_xdl_cshuffle_v3_b_preshuffleINS_13tensor_layout4gemm8RowMajorENS3_11ColumnMajorES4_NS_9f8_fnuz_tENS_7pk_i4_tEfDF16_DF16_NS_16tensor_operation12element_wise11PassThroughESA_SA_LNS8_6device18GemmSpecializationE0ELi256ELi256ELi256ELi128ELi16ELi32ELi16ELi16ELi8ELi4ENS_8SequenceIJLi8ELi32ELi1EEEENSD_IJLi1ELi0ELi2EEEESF_Li2ELi16ELi16ELb0ELi0ENSD_IJLi4ELi64ELi1EEEESF_SF_Li2ELi32ELi32ELb0ELi0ELi1ELi1ENSD_IJLi1ELi32ELi1ELi8EEEELi4ELNS_26BlockGemmPipelineSchedulerE0ELNS_24BlockGemmPipelineVersionE2ES6_S6_Lb0ELb0ELi0EEELb1ELNS_25InMemoryDataOperationEnumE1ELi1ELNS_10TailNumberE1EEEvNT_8ArgumentE.num_vgpr, 0
	.set _ZN2ck45kernel_gemm_xdl_cshuffle_v3_b_preshuffle_2ldsINS_41GridwiseGemm_xdl_cshuffle_v3_b_preshuffleINS_13tensor_layout4gemm8RowMajorENS3_11ColumnMajorES4_NS_9f8_fnuz_tENS_7pk_i4_tEfDF16_DF16_NS_16tensor_operation12element_wise11PassThroughESA_SA_LNS8_6device18GemmSpecializationE0ELi256ELi256ELi256ELi128ELi16ELi32ELi16ELi16ELi8ELi4ENS_8SequenceIJLi8ELi32ELi1EEEENSD_IJLi1ELi0ELi2EEEESF_Li2ELi16ELi16ELb0ELi0ENSD_IJLi4ELi64ELi1EEEESF_SF_Li2ELi32ELi32ELb0ELi0ELi1ELi1ENSD_IJLi1ELi32ELi1ELi8EEEELi4ELNS_26BlockGemmPipelineSchedulerE0ELNS_24BlockGemmPipelineVersionE2ES6_S6_Lb0ELb0ELi0EEELb1ELNS_25InMemoryDataOperationEnumE1ELi1ELNS_10TailNumberE1EEEvNT_8ArgumentE.num_agpr, 0
	.set _ZN2ck45kernel_gemm_xdl_cshuffle_v3_b_preshuffle_2ldsINS_41GridwiseGemm_xdl_cshuffle_v3_b_preshuffleINS_13tensor_layout4gemm8RowMajorENS3_11ColumnMajorES4_NS_9f8_fnuz_tENS_7pk_i4_tEfDF16_DF16_NS_16tensor_operation12element_wise11PassThroughESA_SA_LNS8_6device18GemmSpecializationE0ELi256ELi256ELi256ELi128ELi16ELi32ELi16ELi16ELi8ELi4ENS_8SequenceIJLi8ELi32ELi1EEEENSD_IJLi1ELi0ELi2EEEESF_Li2ELi16ELi16ELb0ELi0ENSD_IJLi4ELi64ELi1EEEESF_SF_Li2ELi32ELi32ELb0ELi0ELi1ELi1ENSD_IJLi1ELi32ELi1ELi8EEEELi4ELNS_26BlockGemmPipelineSchedulerE0ELNS_24BlockGemmPipelineVersionE2ES6_S6_Lb0ELb0ELi0EEELb1ELNS_25InMemoryDataOperationEnumE1ELi1ELNS_10TailNumberE1EEEvNT_8ArgumentE.numbered_sgpr, 0
	.set _ZN2ck45kernel_gemm_xdl_cshuffle_v3_b_preshuffle_2ldsINS_41GridwiseGemm_xdl_cshuffle_v3_b_preshuffleINS_13tensor_layout4gemm8RowMajorENS3_11ColumnMajorES4_NS_9f8_fnuz_tENS_7pk_i4_tEfDF16_DF16_NS_16tensor_operation12element_wise11PassThroughESA_SA_LNS8_6device18GemmSpecializationE0ELi256ELi256ELi256ELi128ELi16ELi32ELi16ELi16ELi8ELi4ENS_8SequenceIJLi8ELi32ELi1EEEENSD_IJLi1ELi0ELi2EEEESF_Li2ELi16ELi16ELb0ELi0ENSD_IJLi4ELi64ELi1EEEESF_SF_Li2ELi32ELi32ELb0ELi0ELi1ELi1ENSD_IJLi1ELi32ELi1ELi8EEEELi4ELNS_26BlockGemmPipelineSchedulerE0ELNS_24BlockGemmPipelineVersionE2ES6_S6_Lb0ELb0ELi0EEELb1ELNS_25InMemoryDataOperationEnumE1ELi1ELNS_10TailNumberE1EEEvNT_8ArgumentE.num_named_barrier, 0
	.set _ZN2ck45kernel_gemm_xdl_cshuffle_v3_b_preshuffle_2ldsINS_41GridwiseGemm_xdl_cshuffle_v3_b_preshuffleINS_13tensor_layout4gemm8RowMajorENS3_11ColumnMajorES4_NS_9f8_fnuz_tENS_7pk_i4_tEfDF16_DF16_NS_16tensor_operation12element_wise11PassThroughESA_SA_LNS8_6device18GemmSpecializationE0ELi256ELi256ELi256ELi128ELi16ELi32ELi16ELi16ELi8ELi4ENS_8SequenceIJLi8ELi32ELi1EEEENSD_IJLi1ELi0ELi2EEEESF_Li2ELi16ELi16ELb0ELi0ENSD_IJLi4ELi64ELi1EEEESF_SF_Li2ELi32ELi32ELb0ELi0ELi1ELi1ENSD_IJLi1ELi32ELi1ELi8EEEELi4ELNS_26BlockGemmPipelineSchedulerE0ELNS_24BlockGemmPipelineVersionE2ES6_S6_Lb0ELb0ELi0EEELb1ELNS_25InMemoryDataOperationEnumE1ELi1ELNS_10TailNumberE1EEEvNT_8ArgumentE.private_seg_size, 0
	.set _ZN2ck45kernel_gemm_xdl_cshuffle_v3_b_preshuffle_2ldsINS_41GridwiseGemm_xdl_cshuffle_v3_b_preshuffleINS_13tensor_layout4gemm8RowMajorENS3_11ColumnMajorES4_NS_9f8_fnuz_tENS_7pk_i4_tEfDF16_DF16_NS_16tensor_operation12element_wise11PassThroughESA_SA_LNS8_6device18GemmSpecializationE0ELi256ELi256ELi256ELi128ELi16ELi32ELi16ELi16ELi8ELi4ENS_8SequenceIJLi8ELi32ELi1EEEENSD_IJLi1ELi0ELi2EEEESF_Li2ELi16ELi16ELb0ELi0ENSD_IJLi4ELi64ELi1EEEESF_SF_Li2ELi32ELi32ELb0ELi0ELi1ELi1ENSD_IJLi1ELi32ELi1ELi8EEEELi4ELNS_26BlockGemmPipelineSchedulerE0ELNS_24BlockGemmPipelineVersionE2ES6_S6_Lb0ELb0ELi0EEELb1ELNS_25InMemoryDataOperationEnumE1ELi1ELNS_10TailNumberE1EEEvNT_8ArgumentE.uses_vcc, 0
	.set _ZN2ck45kernel_gemm_xdl_cshuffle_v3_b_preshuffle_2ldsINS_41GridwiseGemm_xdl_cshuffle_v3_b_preshuffleINS_13tensor_layout4gemm8RowMajorENS3_11ColumnMajorES4_NS_9f8_fnuz_tENS_7pk_i4_tEfDF16_DF16_NS_16tensor_operation12element_wise11PassThroughESA_SA_LNS8_6device18GemmSpecializationE0ELi256ELi256ELi256ELi128ELi16ELi32ELi16ELi16ELi8ELi4ENS_8SequenceIJLi8ELi32ELi1EEEENSD_IJLi1ELi0ELi2EEEESF_Li2ELi16ELi16ELb0ELi0ENSD_IJLi4ELi64ELi1EEEESF_SF_Li2ELi32ELi32ELb0ELi0ELi1ELi1ENSD_IJLi1ELi32ELi1ELi8EEEELi4ELNS_26BlockGemmPipelineSchedulerE0ELNS_24BlockGemmPipelineVersionE2ES6_S6_Lb0ELb0ELi0EEELb1ELNS_25InMemoryDataOperationEnumE1ELi1ELNS_10TailNumberE1EEEvNT_8ArgumentE.uses_flat_scratch, 0
	.set _ZN2ck45kernel_gemm_xdl_cshuffle_v3_b_preshuffle_2ldsINS_41GridwiseGemm_xdl_cshuffle_v3_b_preshuffleINS_13tensor_layout4gemm8RowMajorENS3_11ColumnMajorES4_NS_9f8_fnuz_tENS_7pk_i4_tEfDF16_DF16_NS_16tensor_operation12element_wise11PassThroughESA_SA_LNS8_6device18GemmSpecializationE0ELi256ELi256ELi256ELi128ELi16ELi32ELi16ELi16ELi8ELi4ENS_8SequenceIJLi8ELi32ELi1EEEENSD_IJLi1ELi0ELi2EEEESF_Li2ELi16ELi16ELb0ELi0ENSD_IJLi4ELi64ELi1EEEESF_SF_Li2ELi32ELi32ELb0ELi0ELi1ELi1ENSD_IJLi1ELi32ELi1ELi8EEEELi4ELNS_26BlockGemmPipelineSchedulerE0ELNS_24BlockGemmPipelineVersionE2ES6_S6_Lb0ELb0ELi0EEELb1ELNS_25InMemoryDataOperationEnumE1ELi1ELNS_10TailNumberE1EEEvNT_8ArgumentE.has_dyn_sized_stack, 0
	.set _ZN2ck45kernel_gemm_xdl_cshuffle_v3_b_preshuffle_2ldsINS_41GridwiseGemm_xdl_cshuffle_v3_b_preshuffleINS_13tensor_layout4gemm8RowMajorENS3_11ColumnMajorES4_NS_9f8_fnuz_tENS_7pk_i4_tEfDF16_DF16_NS_16tensor_operation12element_wise11PassThroughESA_SA_LNS8_6device18GemmSpecializationE0ELi256ELi256ELi256ELi128ELi16ELi32ELi16ELi16ELi8ELi4ENS_8SequenceIJLi8ELi32ELi1EEEENSD_IJLi1ELi0ELi2EEEESF_Li2ELi16ELi16ELb0ELi0ENSD_IJLi4ELi64ELi1EEEESF_SF_Li2ELi32ELi32ELb0ELi0ELi1ELi1ENSD_IJLi1ELi32ELi1ELi8EEEELi4ELNS_26BlockGemmPipelineSchedulerE0ELNS_24BlockGemmPipelineVersionE2ES6_S6_Lb0ELb0ELi0EEELb1ELNS_25InMemoryDataOperationEnumE1ELi1ELNS_10TailNumberE1EEEvNT_8ArgumentE.has_recursion, 0
	.set _ZN2ck45kernel_gemm_xdl_cshuffle_v3_b_preshuffle_2ldsINS_41GridwiseGemm_xdl_cshuffle_v3_b_preshuffleINS_13tensor_layout4gemm8RowMajorENS3_11ColumnMajorES4_NS_9f8_fnuz_tENS_7pk_i4_tEfDF16_DF16_NS_16tensor_operation12element_wise11PassThroughESA_SA_LNS8_6device18GemmSpecializationE0ELi256ELi256ELi256ELi128ELi16ELi32ELi16ELi16ELi8ELi4ENS_8SequenceIJLi8ELi32ELi1EEEENSD_IJLi1ELi0ELi2EEEESF_Li2ELi16ELi16ELb0ELi0ENSD_IJLi4ELi64ELi1EEEESF_SF_Li2ELi32ELi32ELb0ELi0ELi1ELi1ENSD_IJLi1ELi32ELi1ELi8EEEELi4ELNS_26BlockGemmPipelineSchedulerE0ELNS_24BlockGemmPipelineVersionE2ES6_S6_Lb0ELb0ELi0EEELb1ELNS_25InMemoryDataOperationEnumE1ELi1ELNS_10TailNumberE1EEEvNT_8ArgumentE.has_indirect_call, 0
	.section	.AMDGPU.csdata,"",@progbits
; Kernel info:
; codeLenInByte = 4
; TotalNumSgprs: 6
; NumVgprs: 0
; NumAgprs: 0
; TotalNumVgprs: 0
; ScratchSize: 0
; MemoryBound: 0
; FloatMode: 240
; IeeeMode: 1
; LDSByteSize: 0 bytes/workgroup (compile time only)
; SGPRBlocks: 0
; VGPRBlocks: 0
; NumSGPRsForWavesPerEU: 6
; NumVGPRsForWavesPerEU: 1
; AccumOffset: 4
; Occupancy: 8
; WaveLimiterHint : 0
; COMPUTE_PGM_RSRC2:SCRATCH_EN: 0
; COMPUTE_PGM_RSRC2:USER_SGPR: 2
; COMPUTE_PGM_RSRC2:TRAP_HANDLER: 0
; COMPUTE_PGM_RSRC2:TGID_X_EN: 1
; COMPUTE_PGM_RSRC2:TGID_Y_EN: 0
; COMPUTE_PGM_RSRC2:TGID_Z_EN: 0
; COMPUTE_PGM_RSRC2:TIDIG_COMP_CNT: 0
; COMPUTE_PGM_RSRC3_GFX90A:ACCUM_OFFSET: 0
; COMPUTE_PGM_RSRC3_GFX90A:TG_SPLIT: 0
	.section	.text._ZN2ck45kernel_gemm_xdl_cshuffle_v3_b_preshuffle_2ldsINS_41GridwiseGemm_xdl_cshuffle_v3_b_preshuffleINS_13tensor_layout4gemm8RowMajorENS3_11ColumnMajorES4_NS_9f8_fnuz_tENS_7pk_i4_tEfDF16_DF16_NS_16tensor_operation12element_wise11PassThroughESA_SA_LNS8_6device18GemmSpecializationE0ELi256ELi256ELi256ELi128ELi16ELi32ELi16ELi16ELi8ELi4ENS_8SequenceIJLi8ELi32ELi1EEEENSD_IJLi1ELi0ELi2EEEESF_Li2ELi16ELi16ELb0ELi0ENSD_IJLi4ELi64ELi1EEEESF_SF_Li2ELi32ELi32ELb0ELi0ELi1ELi1ENSD_IJLi1ELi32ELi1ELi8EEEELi4ELNS_26BlockGemmPipelineSchedulerE0ELNS_24BlockGemmPipelineVersionE2ES6_S6_Lb0ELb0ELi0EEELb1ELNS_25InMemoryDataOperationEnumE0ELi1ELNS_10TailNumberE0EEEvNT_8ArgumentE,"axG",@progbits,_ZN2ck45kernel_gemm_xdl_cshuffle_v3_b_preshuffle_2ldsINS_41GridwiseGemm_xdl_cshuffle_v3_b_preshuffleINS_13tensor_layout4gemm8RowMajorENS3_11ColumnMajorES4_NS_9f8_fnuz_tENS_7pk_i4_tEfDF16_DF16_NS_16tensor_operation12element_wise11PassThroughESA_SA_LNS8_6device18GemmSpecializationE0ELi256ELi256ELi256ELi128ELi16ELi32ELi16ELi16ELi8ELi4ENS_8SequenceIJLi8ELi32ELi1EEEENSD_IJLi1ELi0ELi2EEEESF_Li2ELi16ELi16ELb0ELi0ENSD_IJLi4ELi64ELi1EEEESF_SF_Li2ELi32ELi32ELb0ELi0ELi1ELi1ENSD_IJLi1ELi32ELi1ELi8EEEELi4ELNS_26BlockGemmPipelineSchedulerE0ELNS_24BlockGemmPipelineVersionE2ES6_S6_Lb0ELb0ELi0EEELb1ELNS_25InMemoryDataOperationEnumE0ELi1ELNS_10TailNumberE0EEEvNT_8ArgumentE,comdat
	.protected	_ZN2ck45kernel_gemm_xdl_cshuffle_v3_b_preshuffle_2ldsINS_41GridwiseGemm_xdl_cshuffle_v3_b_preshuffleINS_13tensor_layout4gemm8RowMajorENS3_11ColumnMajorES4_NS_9f8_fnuz_tENS_7pk_i4_tEfDF16_DF16_NS_16tensor_operation12element_wise11PassThroughESA_SA_LNS8_6device18GemmSpecializationE0ELi256ELi256ELi256ELi128ELi16ELi32ELi16ELi16ELi8ELi4ENS_8SequenceIJLi8ELi32ELi1EEEENSD_IJLi1ELi0ELi2EEEESF_Li2ELi16ELi16ELb0ELi0ENSD_IJLi4ELi64ELi1EEEESF_SF_Li2ELi32ELi32ELb0ELi0ELi1ELi1ENSD_IJLi1ELi32ELi1ELi8EEEELi4ELNS_26BlockGemmPipelineSchedulerE0ELNS_24BlockGemmPipelineVersionE2ES6_S6_Lb0ELb0ELi0EEELb1ELNS_25InMemoryDataOperationEnumE0ELi1ELNS_10TailNumberE0EEEvNT_8ArgumentE ; -- Begin function _ZN2ck45kernel_gemm_xdl_cshuffle_v3_b_preshuffle_2ldsINS_41GridwiseGemm_xdl_cshuffle_v3_b_preshuffleINS_13tensor_layout4gemm8RowMajorENS3_11ColumnMajorES4_NS_9f8_fnuz_tENS_7pk_i4_tEfDF16_DF16_NS_16tensor_operation12element_wise11PassThroughESA_SA_LNS8_6device18GemmSpecializationE0ELi256ELi256ELi256ELi128ELi16ELi32ELi16ELi16ELi8ELi4ENS_8SequenceIJLi8ELi32ELi1EEEENSD_IJLi1ELi0ELi2EEEESF_Li2ELi16ELi16ELb0ELi0ENSD_IJLi4ELi64ELi1EEEESF_SF_Li2ELi32ELi32ELb0ELi0ELi1ELi1ENSD_IJLi1ELi32ELi1ELi8EEEELi4ELNS_26BlockGemmPipelineSchedulerE0ELNS_24BlockGemmPipelineVersionE2ES6_S6_Lb0ELb0ELi0EEELb1ELNS_25InMemoryDataOperationEnumE0ELi1ELNS_10TailNumberE0EEEvNT_8ArgumentE
	.globl	_ZN2ck45kernel_gemm_xdl_cshuffle_v3_b_preshuffle_2ldsINS_41GridwiseGemm_xdl_cshuffle_v3_b_preshuffleINS_13tensor_layout4gemm8RowMajorENS3_11ColumnMajorES4_NS_9f8_fnuz_tENS_7pk_i4_tEfDF16_DF16_NS_16tensor_operation12element_wise11PassThroughESA_SA_LNS8_6device18GemmSpecializationE0ELi256ELi256ELi256ELi128ELi16ELi32ELi16ELi16ELi8ELi4ENS_8SequenceIJLi8ELi32ELi1EEEENSD_IJLi1ELi0ELi2EEEESF_Li2ELi16ELi16ELb0ELi0ENSD_IJLi4ELi64ELi1EEEESF_SF_Li2ELi32ELi32ELb0ELi0ELi1ELi1ENSD_IJLi1ELi32ELi1ELi8EEEELi4ELNS_26BlockGemmPipelineSchedulerE0ELNS_24BlockGemmPipelineVersionE2ES6_S6_Lb0ELb0ELi0EEELb1ELNS_25InMemoryDataOperationEnumE0ELi1ELNS_10TailNumberE0EEEvNT_8ArgumentE
	.p2align	8
	.type	_ZN2ck45kernel_gemm_xdl_cshuffle_v3_b_preshuffle_2ldsINS_41GridwiseGemm_xdl_cshuffle_v3_b_preshuffleINS_13tensor_layout4gemm8RowMajorENS3_11ColumnMajorES4_NS_9f8_fnuz_tENS_7pk_i4_tEfDF16_DF16_NS_16tensor_operation12element_wise11PassThroughESA_SA_LNS8_6device18GemmSpecializationE0ELi256ELi256ELi256ELi128ELi16ELi32ELi16ELi16ELi8ELi4ENS_8SequenceIJLi8ELi32ELi1EEEENSD_IJLi1ELi0ELi2EEEESF_Li2ELi16ELi16ELb0ELi0ENSD_IJLi4ELi64ELi1EEEESF_SF_Li2ELi32ELi32ELb0ELi0ELi1ELi1ENSD_IJLi1ELi32ELi1ELi8EEEELi4ELNS_26BlockGemmPipelineSchedulerE0ELNS_24BlockGemmPipelineVersionE2ES6_S6_Lb0ELb0ELi0EEELb1ELNS_25InMemoryDataOperationEnumE0ELi1ELNS_10TailNumberE0EEEvNT_8ArgumentE,@function
_ZN2ck45kernel_gemm_xdl_cshuffle_v3_b_preshuffle_2ldsINS_41GridwiseGemm_xdl_cshuffle_v3_b_preshuffleINS_13tensor_layout4gemm8RowMajorENS3_11ColumnMajorES4_NS_9f8_fnuz_tENS_7pk_i4_tEfDF16_DF16_NS_16tensor_operation12element_wise11PassThroughESA_SA_LNS8_6device18GemmSpecializationE0ELi256ELi256ELi256ELi128ELi16ELi32ELi16ELi16ELi8ELi4ENS_8SequenceIJLi8ELi32ELi1EEEENSD_IJLi1ELi0ELi2EEEESF_Li2ELi16ELi16ELb0ELi0ENSD_IJLi4ELi64ELi1EEEESF_SF_Li2ELi32ELi32ELb0ELi0ELi1ELi1ENSD_IJLi1ELi32ELi1ELi8EEEELi4ELNS_26BlockGemmPipelineSchedulerE0ELNS_24BlockGemmPipelineVersionE2ES6_S6_Lb0ELb0ELi0EEELb1ELNS_25InMemoryDataOperationEnumE0ELi1ELNS_10TailNumberE0EEEvNT_8ArgumentE: ; @_ZN2ck45kernel_gemm_xdl_cshuffle_v3_b_preshuffle_2ldsINS_41GridwiseGemm_xdl_cshuffle_v3_b_preshuffleINS_13tensor_layout4gemm8RowMajorENS3_11ColumnMajorES4_NS_9f8_fnuz_tENS_7pk_i4_tEfDF16_DF16_NS_16tensor_operation12element_wise11PassThroughESA_SA_LNS8_6device18GemmSpecializationE0ELi256ELi256ELi256ELi128ELi16ELi32ELi16ELi16ELi8ELi4ENS_8SequenceIJLi8ELi32ELi1EEEENSD_IJLi1ELi0ELi2EEEESF_Li2ELi16ELi16ELb0ELi0ENSD_IJLi4ELi64ELi1EEEESF_SF_Li2ELi32ELi32ELb0ELi0ELi1ELi1ENSD_IJLi1ELi32ELi1ELi8EEEELi4ELNS_26BlockGemmPipelineSchedulerE0ELNS_24BlockGemmPipelineVersionE2ES6_S6_Lb0ELb0ELi0EEELb1ELNS_25InMemoryDataOperationEnumE0ELi1ELNS_10TailNumberE0EEEvNT_8ArgumentE
; %bb.0:
	s_endpgm
	.section	.rodata,"a",@progbits
	.p2align	6, 0x0
	.amdhsa_kernel _ZN2ck45kernel_gemm_xdl_cshuffle_v3_b_preshuffle_2ldsINS_41GridwiseGemm_xdl_cshuffle_v3_b_preshuffleINS_13tensor_layout4gemm8RowMajorENS3_11ColumnMajorES4_NS_9f8_fnuz_tENS_7pk_i4_tEfDF16_DF16_NS_16tensor_operation12element_wise11PassThroughESA_SA_LNS8_6device18GemmSpecializationE0ELi256ELi256ELi256ELi128ELi16ELi32ELi16ELi16ELi8ELi4ENS_8SequenceIJLi8ELi32ELi1EEEENSD_IJLi1ELi0ELi2EEEESF_Li2ELi16ELi16ELb0ELi0ENSD_IJLi4ELi64ELi1EEEESF_SF_Li2ELi32ELi32ELb0ELi0ELi1ELi1ENSD_IJLi1ELi32ELi1ELi8EEEELi4ELNS_26BlockGemmPipelineSchedulerE0ELNS_24BlockGemmPipelineVersionE2ES6_S6_Lb0ELb0ELi0EEELb1ELNS_25InMemoryDataOperationEnumE0ELi1ELNS_10TailNumberE0EEEvNT_8ArgumentE
		.amdhsa_group_segment_fixed_size 0
		.amdhsa_private_segment_fixed_size 0
		.amdhsa_kernarg_size 112
		.amdhsa_user_sgpr_count 2
		.amdhsa_user_sgpr_dispatch_ptr 0
		.amdhsa_user_sgpr_queue_ptr 0
		.amdhsa_user_sgpr_kernarg_segment_ptr 1
		.amdhsa_user_sgpr_dispatch_id 0
		.amdhsa_user_sgpr_kernarg_preload_length 0
		.amdhsa_user_sgpr_kernarg_preload_offset 0
		.amdhsa_user_sgpr_private_segment_size 0
		.amdhsa_uses_dynamic_stack 0
		.amdhsa_enable_private_segment 0
		.amdhsa_system_sgpr_workgroup_id_x 1
		.amdhsa_system_sgpr_workgroup_id_y 0
		.amdhsa_system_sgpr_workgroup_id_z 0
		.amdhsa_system_sgpr_workgroup_info 0
		.amdhsa_system_vgpr_workitem_id 0
		.amdhsa_next_free_vgpr 1
		.amdhsa_next_free_sgpr 0
		.amdhsa_accum_offset 4
		.amdhsa_reserve_vcc 0
		.amdhsa_float_round_mode_32 0
		.amdhsa_float_round_mode_16_64 0
		.amdhsa_float_denorm_mode_32 3
		.amdhsa_float_denorm_mode_16_64 3
		.amdhsa_dx10_clamp 1
		.amdhsa_ieee_mode 1
		.amdhsa_fp16_overflow 0
		.amdhsa_tg_split 0
		.amdhsa_exception_fp_ieee_invalid_op 0
		.amdhsa_exception_fp_denorm_src 0
		.amdhsa_exception_fp_ieee_div_zero 0
		.amdhsa_exception_fp_ieee_overflow 0
		.amdhsa_exception_fp_ieee_underflow 0
		.amdhsa_exception_fp_ieee_inexact 0
		.amdhsa_exception_int_div_zero 0
	.end_amdhsa_kernel
	.section	.text._ZN2ck45kernel_gemm_xdl_cshuffle_v3_b_preshuffle_2ldsINS_41GridwiseGemm_xdl_cshuffle_v3_b_preshuffleINS_13tensor_layout4gemm8RowMajorENS3_11ColumnMajorES4_NS_9f8_fnuz_tENS_7pk_i4_tEfDF16_DF16_NS_16tensor_operation12element_wise11PassThroughESA_SA_LNS8_6device18GemmSpecializationE0ELi256ELi256ELi256ELi128ELi16ELi32ELi16ELi16ELi8ELi4ENS_8SequenceIJLi8ELi32ELi1EEEENSD_IJLi1ELi0ELi2EEEESF_Li2ELi16ELi16ELb0ELi0ENSD_IJLi4ELi64ELi1EEEESF_SF_Li2ELi32ELi32ELb0ELi0ELi1ELi1ENSD_IJLi1ELi32ELi1ELi8EEEELi4ELNS_26BlockGemmPipelineSchedulerE0ELNS_24BlockGemmPipelineVersionE2ES6_S6_Lb0ELb0ELi0EEELb1ELNS_25InMemoryDataOperationEnumE0ELi1ELNS_10TailNumberE0EEEvNT_8ArgumentE,"axG",@progbits,_ZN2ck45kernel_gemm_xdl_cshuffle_v3_b_preshuffle_2ldsINS_41GridwiseGemm_xdl_cshuffle_v3_b_preshuffleINS_13tensor_layout4gemm8RowMajorENS3_11ColumnMajorES4_NS_9f8_fnuz_tENS_7pk_i4_tEfDF16_DF16_NS_16tensor_operation12element_wise11PassThroughESA_SA_LNS8_6device18GemmSpecializationE0ELi256ELi256ELi256ELi128ELi16ELi32ELi16ELi16ELi8ELi4ENS_8SequenceIJLi8ELi32ELi1EEEENSD_IJLi1ELi0ELi2EEEESF_Li2ELi16ELi16ELb0ELi0ENSD_IJLi4ELi64ELi1EEEESF_SF_Li2ELi32ELi32ELb0ELi0ELi1ELi1ENSD_IJLi1ELi32ELi1ELi8EEEELi4ELNS_26BlockGemmPipelineSchedulerE0ELNS_24BlockGemmPipelineVersionE2ES6_S6_Lb0ELb0ELi0EEELb1ELNS_25InMemoryDataOperationEnumE0ELi1ELNS_10TailNumberE0EEEvNT_8ArgumentE,comdat
.Lfunc_end9:
	.size	_ZN2ck45kernel_gemm_xdl_cshuffle_v3_b_preshuffle_2ldsINS_41GridwiseGemm_xdl_cshuffle_v3_b_preshuffleINS_13tensor_layout4gemm8RowMajorENS3_11ColumnMajorES4_NS_9f8_fnuz_tENS_7pk_i4_tEfDF16_DF16_NS_16tensor_operation12element_wise11PassThroughESA_SA_LNS8_6device18GemmSpecializationE0ELi256ELi256ELi256ELi128ELi16ELi32ELi16ELi16ELi8ELi4ENS_8SequenceIJLi8ELi32ELi1EEEENSD_IJLi1ELi0ELi2EEEESF_Li2ELi16ELi16ELb0ELi0ENSD_IJLi4ELi64ELi1EEEESF_SF_Li2ELi32ELi32ELb0ELi0ELi1ELi1ENSD_IJLi1ELi32ELi1ELi8EEEELi4ELNS_26BlockGemmPipelineSchedulerE0ELNS_24BlockGemmPipelineVersionE2ES6_S6_Lb0ELb0ELi0EEELb1ELNS_25InMemoryDataOperationEnumE0ELi1ELNS_10TailNumberE0EEEvNT_8ArgumentE, .Lfunc_end9-_ZN2ck45kernel_gemm_xdl_cshuffle_v3_b_preshuffle_2ldsINS_41GridwiseGemm_xdl_cshuffle_v3_b_preshuffleINS_13tensor_layout4gemm8RowMajorENS3_11ColumnMajorES4_NS_9f8_fnuz_tENS_7pk_i4_tEfDF16_DF16_NS_16tensor_operation12element_wise11PassThroughESA_SA_LNS8_6device18GemmSpecializationE0ELi256ELi256ELi256ELi128ELi16ELi32ELi16ELi16ELi8ELi4ENS_8SequenceIJLi8ELi32ELi1EEEENSD_IJLi1ELi0ELi2EEEESF_Li2ELi16ELi16ELb0ELi0ENSD_IJLi4ELi64ELi1EEEESF_SF_Li2ELi32ELi32ELb0ELi0ELi1ELi1ENSD_IJLi1ELi32ELi1ELi8EEEELi4ELNS_26BlockGemmPipelineSchedulerE0ELNS_24BlockGemmPipelineVersionE2ES6_S6_Lb0ELb0ELi0EEELb1ELNS_25InMemoryDataOperationEnumE0ELi1ELNS_10TailNumberE0EEEvNT_8ArgumentE
                                        ; -- End function
	.set _ZN2ck45kernel_gemm_xdl_cshuffle_v3_b_preshuffle_2ldsINS_41GridwiseGemm_xdl_cshuffle_v3_b_preshuffleINS_13tensor_layout4gemm8RowMajorENS3_11ColumnMajorES4_NS_9f8_fnuz_tENS_7pk_i4_tEfDF16_DF16_NS_16tensor_operation12element_wise11PassThroughESA_SA_LNS8_6device18GemmSpecializationE0ELi256ELi256ELi256ELi128ELi16ELi32ELi16ELi16ELi8ELi4ENS_8SequenceIJLi8ELi32ELi1EEEENSD_IJLi1ELi0ELi2EEEESF_Li2ELi16ELi16ELb0ELi0ENSD_IJLi4ELi64ELi1EEEESF_SF_Li2ELi32ELi32ELb0ELi0ELi1ELi1ENSD_IJLi1ELi32ELi1ELi8EEEELi4ELNS_26BlockGemmPipelineSchedulerE0ELNS_24BlockGemmPipelineVersionE2ES6_S6_Lb0ELb0ELi0EEELb1ELNS_25InMemoryDataOperationEnumE0ELi1ELNS_10TailNumberE0EEEvNT_8ArgumentE.num_vgpr, 0
	.set _ZN2ck45kernel_gemm_xdl_cshuffle_v3_b_preshuffle_2ldsINS_41GridwiseGemm_xdl_cshuffle_v3_b_preshuffleINS_13tensor_layout4gemm8RowMajorENS3_11ColumnMajorES4_NS_9f8_fnuz_tENS_7pk_i4_tEfDF16_DF16_NS_16tensor_operation12element_wise11PassThroughESA_SA_LNS8_6device18GemmSpecializationE0ELi256ELi256ELi256ELi128ELi16ELi32ELi16ELi16ELi8ELi4ENS_8SequenceIJLi8ELi32ELi1EEEENSD_IJLi1ELi0ELi2EEEESF_Li2ELi16ELi16ELb0ELi0ENSD_IJLi4ELi64ELi1EEEESF_SF_Li2ELi32ELi32ELb0ELi0ELi1ELi1ENSD_IJLi1ELi32ELi1ELi8EEEELi4ELNS_26BlockGemmPipelineSchedulerE0ELNS_24BlockGemmPipelineVersionE2ES6_S6_Lb0ELb0ELi0EEELb1ELNS_25InMemoryDataOperationEnumE0ELi1ELNS_10TailNumberE0EEEvNT_8ArgumentE.num_agpr, 0
	.set _ZN2ck45kernel_gemm_xdl_cshuffle_v3_b_preshuffle_2ldsINS_41GridwiseGemm_xdl_cshuffle_v3_b_preshuffleINS_13tensor_layout4gemm8RowMajorENS3_11ColumnMajorES4_NS_9f8_fnuz_tENS_7pk_i4_tEfDF16_DF16_NS_16tensor_operation12element_wise11PassThroughESA_SA_LNS8_6device18GemmSpecializationE0ELi256ELi256ELi256ELi128ELi16ELi32ELi16ELi16ELi8ELi4ENS_8SequenceIJLi8ELi32ELi1EEEENSD_IJLi1ELi0ELi2EEEESF_Li2ELi16ELi16ELb0ELi0ENSD_IJLi4ELi64ELi1EEEESF_SF_Li2ELi32ELi32ELb0ELi0ELi1ELi1ENSD_IJLi1ELi32ELi1ELi8EEEELi4ELNS_26BlockGemmPipelineSchedulerE0ELNS_24BlockGemmPipelineVersionE2ES6_S6_Lb0ELb0ELi0EEELb1ELNS_25InMemoryDataOperationEnumE0ELi1ELNS_10TailNumberE0EEEvNT_8ArgumentE.numbered_sgpr, 0
	.set _ZN2ck45kernel_gemm_xdl_cshuffle_v3_b_preshuffle_2ldsINS_41GridwiseGemm_xdl_cshuffle_v3_b_preshuffleINS_13tensor_layout4gemm8RowMajorENS3_11ColumnMajorES4_NS_9f8_fnuz_tENS_7pk_i4_tEfDF16_DF16_NS_16tensor_operation12element_wise11PassThroughESA_SA_LNS8_6device18GemmSpecializationE0ELi256ELi256ELi256ELi128ELi16ELi32ELi16ELi16ELi8ELi4ENS_8SequenceIJLi8ELi32ELi1EEEENSD_IJLi1ELi0ELi2EEEESF_Li2ELi16ELi16ELb0ELi0ENSD_IJLi4ELi64ELi1EEEESF_SF_Li2ELi32ELi32ELb0ELi0ELi1ELi1ENSD_IJLi1ELi32ELi1ELi8EEEELi4ELNS_26BlockGemmPipelineSchedulerE0ELNS_24BlockGemmPipelineVersionE2ES6_S6_Lb0ELb0ELi0EEELb1ELNS_25InMemoryDataOperationEnumE0ELi1ELNS_10TailNumberE0EEEvNT_8ArgumentE.num_named_barrier, 0
	.set _ZN2ck45kernel_gemm_xdl_cshuffle_v3_b_preshuffle_2ldsINS_41GridwiseGemm_xdl_cshuffle_v3_b_preshuffleINS_13tensor_layout4gemm8RowMajorENS3_11ColumnMajorES4_NS_9f8_fnuz_tENS_7pk_i4_tEfDF16_DF16_NS_16tensor_operation12element_wise11PassThroughESA_SA_LNS8_6device18GemmSpecializationE0ELi256ELi256ELi256ELi128ELi16ELi32ELi16ELi16ELi8ELi4ENS_8SequenceIJLi8ELi32ELi1EEEENSD_IJLi1ELi0ELi2EEEESF_Li2ELi16ELi16ELb0ELi0ENSD_IJLi4ELi64ELi1EEEESF_SF_Li2ELi32ELi32ELb0ELi0ELi1ELi1ENSD_IJLi1ELi32ELi1ELi8EEEELi4ELNS_26BlockGemmPipelineSchedulerE0ELNS_24BlockGemmPipelineVersionE2ES6_S6_Lb0ELb0ELi0EEELb1ELNS_25InMemoryDataOperationEnumE0ELi1ELNS_10TailNumberE0EEEvNT_8ArgumentE.private_seg_size, 0
	.set _ZN2ck45kernel_gemm_xdl_cshuffle_v3_b_preshuffle_2ldsINS_41GridwiseGemm_xdl_cshuffle_v3_b_preshuffleINS_13tensor_layout4gemm8RowMajorENS3_11ColumnMajorES4_NS_9f8_fnuz_tENS_7pk_i4_tEfDF16_DF16_NS_16tensor_operation12element_wise11PassThroughESA_SA_LNS8_6device18GemmSpecializationE0ELi256ELi256ELi256ELi128ELi16ELi32ELi16ELi16ELi8ELi4ENS_8SequenceIJLi8ELi32ELi1EEEENSD_IJLi1ELi0ELi2EEEESF_Li2ELi16ELi16ELb0ELi0ENSD_IJLi4ELi64ELi1EEEESF_SF_Li2ELi32ELi32ELb0ELi0ELi1ELi1ENSD_IJLi1ELi32ELi1ELi8EEEELi4ELNS_26BlockGemmPipelineSchedulerE0ELNS_24BlockGemmPipelineVersionE2ES6_S6_Lb0ELb0ELi0EEELb1ELNS_25InMemoryDataOperationEnumE0ELi1ELNS_10TailNumberE0EEEvNT_8ArgumentE.uses_vcc, 0
	.set _ZN2ck45kernel_gemm_xdl_cshuffle_v3_b_preshuffle_2ldsINS_41GridwiseGemm_xdl_cshuffle_v3_b_preshuffleINS_13tensor_layout4gemm8RowMajorENS3_11ColumnMajorES4_NS_9f8_fnuz_tENS_7pk_i4_tEfDF16_DF16_NS_16tensor_operation12element_wise11PassThroughESA_SA_LNS8_6device18GemmSpecializationE0ELi256ELi256ELi256ELi128ELi16ELi32ELi16ELi16ELi8ELi4ENS_8SequenceIJLi8ELi32ELi1EEEENSD_IJLi1ELi0ELi2EEEESF_Li2ELi16ELi16ELb0ELi0ENSD_IJLi4ELi64ELi1EEEESF_SF_Li2ELi32ELi32ELb0ELi0ELi1ELi1ENSD_IJLi1ELi32ELi1ELi8EEEELi4ELNS_26BlockGemmPipelineSchedulerE0ELNS_24BlockGemmPipelineVersionE2ES6_S6_Lb0ELb0ELi0EEELb1ELNS_25InMemoryDataOperationEnumE0ELi1ELNS_10TailNumberE0EEEvNT_8ArgumentE.uses_flat_scratch, 0
	.set _ZN2ck45kernel_gemm_xdl_cshuffle_v3_b_preshuffle_2ldsINS_41GridwiseGemm_xdl_cshuffle_v3_b_preshuffleINS_13tensor_layout4gemm8RowMajorENS3_11ColumnMajorES4_NS_9f8_fnuz_tENS_7pk_i4_tEfDF16_DF16_NS_16tensor_operation12element_wise11PassThroughESA_SA_LNS8_6device18GemmSpecializationE0ELi256ELi256ELi256ELi128ELi16ELi32ELi16ELi16ELi8ELi4ENS_8SequenceIJLi8ELi32ELi1EEEENSD_IJLi1ELi0ELi2EEEESF_Li2ELi16ELi16ELb0ELi0ENSD_IJLi4ELi64ELi1EEEESF_SF_Li2ELi32ELi32ELb0ELi0ELi1ELi1ENSD_IJLi1ELi32ELi1ELi8EEEELi4ELNS_26BlockGemmPipelineSchedulerE0ELNS_24BlockGemmPipelineVersionE2ES6_S6_Lb0ELb0ELi0EEELb1ELNS_25InMemoryDataOperationEnumE0ELi1ELNS_10TailNumberE0EEEvNT_8ArgumentE.has_dyn_sized_stack, 0
	.set _ZN2ck45kernel_gemm_xdl_cshuffle_v3_b_preshuffle_2ldsINS_41GridwiseGemm_xdl_cshuffle_v3_b_preshuffleINS_13tensor_layout4gemm8RowMajorENS3_11ColumnMajorES4_NS_9f8_fnuz_tENS_7pk_i4_tEfDF16_DF16_NS_16tensor_operation12element_wise11PassThroughESA_SA_LNS8_6device18GemmSpecializationE0ELi256ELi256ELi256ELi128ELi16ELi32ELi16ELi16ELi8ELi4ENS_8SequenceIJLi8ELi32ELi1EEEENSD_IJLi1ELi0ELi2EEEESF_Li2ELi16ELi16ELb0ELi0ENSD_IJLi4ELi64ELi1EEEESF_SF_Li2ELi32ELi32ELb0ELi0ELi1ELi1ENSD_IJLi1ELi32ELi1ELi8EEEELi4ELNS_26BlockGemmPipelineSchedulerE0ELNS_24BlockGemmPipelineVersionE2ES6_S6_Lb0ELb0ELi0EEELb1ELNS_25InMemoryDataOperationEnumE0ELi1ELNS_10TailNumberE0EEEvNT_8ArgumentE.has_recursion, 0
	.set _ZN2ck45kernel_gemm_xdl_cshuffle_v3_b_preshuffle_2ldsINS_41GridwiseGemm_xdl_cshuffle_v3_b_preshuffleINS_13tensor_layout4gemm8RowMajorENS3_11ColumnMajorES4_NS_9f8_fnuz_tENS_7pk_i4_tEfDF16_DF16_NS_16tensor_operation12element_wise11PassThroughESA_SA_LNS8_6device18GemmSpecializationE0ELi256ELi256ELi256ELi128ELi16ELi32ELi16ELi16ELi8ELi4ENS_8SequenceIJLi8ELi32ELi1EEEENSD_IJLi1ELi0ELi2EEEESF_Li2ELi16ELi16ELb0ELi0ENSD_IJLi4ELi64ELi1EEEESF_SF_Li2ELi32ELi32ELb0ELi0ELi1ELi1ENSD_IJLi1ELi32ELi1ELi8EEEELi4ELNS_26BlockGemmPipelineSchedulerE0ELNS_24BlockGemmPipelineVersionE2ES6_S6_Lb0ELb0ELi0EEELb1ELNS_25InMemoryDataOperationEnumE0ELi1ELNS_10TailNumberE0EEEvNT_8ArgumentE.has_indirect_call, 0
	.section	.AMDGPU.csdata,"",@progbits
; Kernel info:
; codeLenInByte = 4
; TotalNumSgprs: 6
; NumVgprs: 0
; NumAgprs: 0
; TotalNumVgprs: 0
; ScratchSize: 0
; MemoryBound: 0
; FloatMode: 240
; IeeeMode: 1
; LDSByteSize: 0 bytes/workgroup (compile time only)
; SGPRBlocks: 0
; VGPRBlocks: 0
; NumSGPRsForWavesPerEU: 6
; NumVGPRsForWavesPerEU: 1
; AccumOffset: 4
; Occupancy: 8
; WaveLimiterHint : 0
; COMPUTE_PGM_RSRC2:SCRATCH_EN: 0
; COMPUTE_PGM_RSRC2:USER_SGPR: 2
; COMPUTE_PGM_RSRC2:TRAP_HANDLER: 0
; COMPUTE_PGM_RSRC2:TGID_X_EN: 1
; COMPUTE_PGM_RSRC2:TGID_Y_EN: 0
; COMPUTE_PGM_RSRC2:TGID_Z_EN: 0
; COMPUTE_PGM_RSRC2:TIDIG_COMP_CNT: 0
; COMPUTE_PGM_RSRC3_GFX90A:ACCUM_OFFSET: 0
; COMPUTE_PGM_RSRC3_GFX90A:TG_SPLIT: 0
	.section	.text._ZN2ck45kernel_gemm_xdl_cshuffle_v3_b_preshuffle_2ldsINS_41GridwiseGemm_xdl_cshuffle_v3_b_preshuffleINS_13tensor_layout4gemm8RowMajorENS3_11ColumnMajorES4_NS_9f8_fnuz_tENS_7pk_i4_tEfDF16_DF16_NS_16tensor_operation12element_wise11PassThroughESA_SA_LNS8_6device18GemmSpecializationE0ELi256ELi256ELi256ELi128ELi16ELi32ELi16ELi16ELi8ELi4ENS_8SequenceIJLi8ELi32ELi1EEEENSD_IJLi1ELi0ELi2EEEESF_Li2ELi16ELi16ELb0ELi0ENSD_IJLi4ELi64ELi1EEEESF_SF_Li2ELi32ELi32ELb0ELi0ELi1ELi1ENSD_IJLi1ELi32ELi1ELi8EEEELi4ELNS_26BlockGemmPipelineSchedulerE0ELNS_24BlockGemmPipelineVersionE2ES6_S6_Lb0ELb0ELi0EEELb1ELNS_25InMemoryDataOperationEnumE0ELi1ELNS_10TailNumberE1EEEvNT_8ArgumentE,"axG",@progbits,_ZN2ck45kernel_gemm_xdl_cshuffle_v3_b_preshuffle_2ldsINS_41GridwiseGemm_xdl_cshuffle_v3_b_preshuffleINS_13tensor_layout4gemm8RowMajorENS3_11ColumnMajorES4_NS_9f8_fnuz_tENS_7pk_i4_tEfDF16_DF16_NS_16tensor_operation12element_wise11PassThroughESA_SA_LNS8_6device18GemmSpecializationE0ELi256ELi256ELi256ELi128ELi16ELi32ELi16ELi16ELi8ELi4ENS_8SequenceIJLi8ELi32ELi1EEEENSD_IJLi1ELi0ELi2EEEESF_Li2ELi16ELi16ELb0ELi0ENSD_IJLi4ELi64ELi1EEEESF_SF_Li2ELi32ELi32ELb0ELi0ELi1ELi1ENSD_IJLi1ELi32ELi1ELi8EEEELi4ELNS_26BlockGemmPipelineSchedulerE0ELNS_24BlockGemmPipelineVersionE2ES6_S6_Lb0ELb0ELi0EEELb1ELNS_25InMemoryDataOperationEnumE0ELi1ELNS_10TailNumberE1EEEvNT_8ArgumentE,comdat
	.protected	_ZN2ck45kernel_gemm_xdl_cshuffle_v3_b_preshuffle_2ldsINS_41GridwiseGemm_xdl_cshuffle_v3_b_preshuffleINS_13tensor_layout4gemm8RowMajorENS3_11ColumnMajorES4_NS_9f8_fnuz_tENS_7pk_i4_tEfDF16_DF16_NS_16tensor_operation12element_wise11PassThroughESA_SA_LNS8_6device18GemmSpecializationE0ELi256ELi256ELi256ELi128ELi16ELi32ELi16ELi16ELi8ELi4ENS_8SequenceIJLi8ELi32ELi1EEEENSD_IJLi1ELi0ELi2EEEESF_Li2ELi16ELi16ELb0ELi0ENSD_IJLi4ELi64ELi1EEEESF_SF_Li2ELi32ELi32ELb0ELi0ELi1ELi1ENSD_IJLi1ELi32ELi1ELi8EEEELi4ELNS_26BlockGemmPipelineSchedulerE0ELNS_24BlockGemmPipelineVersionE2ES6_S6_Lb0ELb0ELi0EEELb1ELNS_25InMemoryDataOperationEnumE0ELi1ELNS_10TailNumberE1EEEvNT_8ArgumentE ; -- Begin function _ZN2ck45kernel_gemm_xdl_cshuffle_v3_b_preshuffle_2ldsINS_41GridwiseGemm_xdl_cshuffle_v3_b_preshuffleINS_13tensor_layout4gemm8RowMajorENS3_11ColumnMajorES4_NS_9f8_fnuz_tENS_7pk_i4_tEfDF16_DF16_NS_16tensor_operation12element_wise11PassThroughESA_SA_LNS8_6device18GemmSpecializationE0ELi256ELi256ELi256ELi128ELi16ELi32ELi16ELi16ELi8ELi4ENS_8SequenceIJLi8ELi32ELi1EEEENSD_IJLi1ELi0ELi2EEEESF_Li2ELi16ELi16ELb0ELi0ENSD_IJLi4ELi64ELi1EEEESF_SF_Li2ELi32ELi32ELb0ELi0ELi1ELi1ENSD_IJLi1ELi32ELi1ELi8EEEELi4ELNS_26BlockGemmPipelineSchedulerE0ELNS_24BlockGemmPipelineVersionE2ES6_S6_Lb0ELb0ELi0EEELb1ELNS_25InMemoryDataOperationEnumE0ELi1ELNS_10TailNumberE1EEEvNT_8ArgumentE
	.globl	_ZN2ck45kernel_gemm_xdl_cshuffle_v3_b_preshuffle_2ldsINS_41GridwiseGemm_xdl_cshuffle_v3_b_preshuffleINS_13tensor_layout4gemm8RowMajorENS3_11ColumnMajorES4_NS_9f8_fnuz_tENS_7pk_i4_tEfDF16_DF16_NS_16tensor_operation12element_wise11PassThroughESA_SA_LNS8_6device18GemmSpecializationE0ELi256ELi256ELi256ELi128ELi16ELi32ELi16ELi16ELi8ELi4ENS_8SequenceIJLi8ELi32ELi1EEEENSD_IJLi1ELi0ELi2EEEESF_Li2ELi16ELi16ELb0ELi0ENSD_IJLi4ELi64ELi1EEEESF_SF_Li2ELi32ELi32ELb0ELi0ELi1ELi1ENSD_IJLi1ELi32ELi1ELi8EEEELi4ELNS_26BlockGemmPipelineSchedulerE0ELNS_24BlockGemmPipelineVersionE2ES6_S6_Lb0ELb0ELi0EEELb1ELNS_25InMemoryDataOperationEnumE0ELi1ELNS_10TailNumberE1EEEvNT_8ArgumentE
	.p2align	8
	.type	_ZN2ck45kernel_gemm_xdl_cshuffle_v3_b_preshuffle_2ldsINS_41GridwiseGemm_xdl_cshuffle_v3_b_preshuffleINS_13tensor_layout4gemm8RowMajorENS3_11ColumnMajorES4_NS_9f8_fnuz_tENS_7pk_i4_tEfDF16_DF16_NS_16tensor_operation12element_wise11PassThroughESA_SA_LNS8_6device18GemmSpecializationE0ELi256ELi256ELi256ELi128ELi16ELi32ELi16ELi16ELi8ELi4ENS_8SequenceIJLi8ELi32ELi1EEEENSD_IJLi1ELi0ELi2EEEESF_Li2ELi16ELi16ELb0ELi0ENSD_IJLi4ELi64ELi1EEEESF_SF_Li2ELi32ELi32ELb0ELi0ELi1ELi1ENSD_IJLi1ELi32ELi1ELi8EEEELi4ELNS_26BlockGemmPipelineSchedulerE0ELNS_24BlockGemmPipelineVersionE2ES6_S6_Lb0ELb0ELi0EEELb1ELNS_25InMemoryDataOperationEnumE0ELi1ELNS_10TailNumberE1EEEvNT_8ArgumentE,@function
_ZN2ck45kernel_gemm_xdl_cshuffle_v3_b_preshuffle_2ldsINS_41GridwiseGemm_xdl_cshuffle_v3_b_preshuffleINS_13tensor_layout4gemm8RowMajorENS3_11ColumnMajorES4_NS_9f8_fnuz_tENS_7pk_i4_tEfDF16_DF16_NS_16tensor_operation12element_wise11PassThroughESA_SA_LNS8_6device18GemmSpecializationE0ELi256ELi256ELi256ELi128ELi16ELi32ELi16ELi16ELi8ELi4ENS_8SequenceIJLi8ELi32ELi1EEEENSD_IJLi1ELi0ELi2EEEESF_Li2ELi16ELi16ELb0ELi0ENSD_IJLi4ELi64ELi1EEEESF_SF_Li2ELi32ELi32ELb0ELi0ELi1ELi1ENSD_IJLi1ELi32ELi1ELi8EEEELi4ELNS_26BlockGemmPipelineSchedulerE0ELNS_24BlockGemmPipelineVersionE2ES6_S6_Lb0ELb0ELi0EEELb1ELNS_25InMemoryDataOperationEnumE0ELi1ELNS_10TailNumberE1EEEvNT_8ArgumentE: ; @_ZN2ck45kernel_gemm_xdl_cshuffle_v3_b_preshuffle_2ldsINS_41GridwiseGemm_xdl_cshuffle_v3_b_preshuffleINS_13tensor_layout4gemm8RowMajorENS3_11ColumnMajorES4_NS_9f8_fnuz_tENS_7pk_i4_tEfDF16_DF16_NS_16tensor_operation12element_wise11PassThroughESA_SA_LNS8_6device18GemmSpecializationE0ELi256ELi256ELi256ELi128ELi16ELi32ELi16ELi16ELi8ELi4ENS_8SequenceIJLi8ELi32ELi1EEEENSD_IJLi1ELi0ELi2EEEESF_Li2ELi16ELi16ELb0ELi0ENSD_IJLi4ELi64ELi1EEEESF_SF_Li2ELi32ELi32ELb0ELi0ELi1ELi1ENSD_IJLi1ELi32ELi1ELi8EEEELi4ELNS_26BlockGemmPipelineSchedulerE0ELNS_24BlockGemmPipelineVersionE2ES6_S6_Lb0ELb0ELi0EEELb1ELNS_25InMemoryDataOperationEnumE0ELi1ELNS_10TailNumberE1EEEvNT_8ArgumentE
; %bb.0:
	s_endpgm
	.section	.rodata,"a",@progbits
	.p2align	6, 0x0
	.amdhsa_kernel _ZN2ck45kernel_gemm_xdl_cshuffle_v3_b_preshuffle_2ldsINS_41GridwiseGemm_xdl_cshuffle_v3_b_preshuffleINS_13tensor_layout4gemm8RowMajorENS3_11ColumnMajorES4_NS_9f8_fnuz_tENS_7pk_i4_tEfDF16_DF16_NS_16tensor_operation12element_wise11PassThroughESA_SA_LNS8_6device18GemmSpecializationE0ELi256ELi256ELi256ELi128ELi16ELi32ELi16ELi16ELi8ELi4ENS_8SequenceIJLi8ELi32ELi1EEEENSD_IJLi1ELi0ELi2EEEESF_Li2ELi16ELi16ELb0ELi0ENSD_IJLi4ELi64ELi1EEEESF_SF_Li2ELi32ELi32ELb0ELi0ELi1ELi1ENSD_IJLi1ELi32ELi1ELi8EEEELi4ELNS_26BlockGemmPipelineSchedulerE0ELNS_24BlockGemmPipelineVersionE2ES6_S6_Lb0ELb0ELi0EEELb1ELNS_25InMemoryDataOperationEnumE0ELi1ELNS_10TailNumberE1EEEvNT_8ArgumentE
		.amdhsa_group_segment_fixed_size 0
		.amdhsa_private_segment_fixed_size 0
		.amdhsa_kernarg_size 112
		.amdhsa_user_sgpr_count 2
		.amdhsa_user_sgpr_dispatch_ptr 0
		.amdhsa_user_sgpr_queue_ptr 0
		.amdhsa_user_sgpr_kernarg_segment_ptr 1
		.amdhsa_user_sgpr_dispatch_id 0
		.amdhsa_user_sgpr_kernarg_preload_length 0
		.amdhsa_user_sgpr_kernarg_preload_offset 0
		.amdhsa_user_sgpr_private_segment_size 0
		.amdhsa_uses_dynamic_stack 0
		.amdhsa_enable_private_segment 0
		.amdhsa_system_sgpr_workgroup_id_x 1
		.amdhsa_system_sgpr_workgroup_id_y 0
		.amdhsa_system_sgpr_workgroup_id_z 0
		.amdhsa_system_sgpr_workgroup_info 0
		.amdhsa_system_vgpr_workitem_id 0
		.amdhsa_next_free_vgpr 1
		.amdhsa_next_free_sgpr 0
		.amdhsa_accum_offset 4
		.amdhsa_reserve_vcc 0
		.amdhsa_float_round_mode_32 0
		.amdhsa_float_round_mode_16_64 0
		.amdhsa_float_denorm_mode_32 3
		.amdhsa_float_denorm_mode_16_64 3
		.amdhsa_dx10_clamp 1
		.amdhsa_ieee_mode 1
		.amdhsa_fp16_overflow 0
		.amdhsa_tg_split 0
		.amdhsa_exception_fp_ieee_invalid_op 0
		.amdhsa_exception_fp_denorm_src 0
		.amdhsa_exception_fp_ieee_div_zero 0
		.amdhsa_exception_fp_ieee_overflow 0
		.amdhsa_exception_fp_ieee_underflow 0
		.amdhsa_exception_fp_ieee_inexact 0
		.amdhsa_exception_int_div_zero 0
	.end_amdhsa_kernel
	.section	.text._ZN2ck45kernel_gemm_xdl_cshuffle_v3_b_preshuffle_2ldsINS_41GridwiseGemm_xdl_cshuffle_v3_b_preshuffleINS_13tensor_layout4gemm8RowMajorENS3_11ColumnMajorES4_NS_9f8_fnuz_tENS_7pk_i4_tEfDF16_DF16_NS_16tensor_operation12element_wise11PassThroughESA_SA_LNS8_6device18GemmSpecializationE0ELi256ELi256ELi256ELi128ELi16ELi32ELi16ELi16ELi8ELi4ENS_8SequenceIJLi8ELi32ELi1EEEENSD_IJLi1ELi0ELi2EEEESF_Li2ELi16ELi16ELb0ELi0ENSD_IJLi4ELi64ELi1EEEESF_SF_Li2ELi32ELi32ELb0ELi0ELi1ELi1ENSD_IJLi1ELi32ELi1ELi8EEEELi4ELNS_26BlockGemmPipelineSchedulerE0ELNS_24BlockGemmPipelineVersionE2ES6_S6_Lb0ELb0ELi0EEELb1ELNS_25InMemoryDataOperationEnumE0ELi1ELNS_10TailNumberE1EEEvNT_8ArgumentE,"axG",@progbits,_ZN2ck45kernel_gemm_xdl_cshuffle_v3_b_preshuffle_2ldsINS_41GridwiseGemm_xdl_cshuffle_v3_b_preshuffleINS_13tensor_layout4gemm8RowMajorENS3_11ColumnMajorES4_NS_9f8_fnuz_tENS_7pk_i4_tEfDF16_DF16_NS_16tensor_operation12element_wise11PassThroughESA_SA_LNS8_6device18GemmSpecializationE0ELi256ELi256ELi256ELi128ELi16ELi32ELi16ELi16ELi8ELi4ENS_8SequenceIJLi8ELi32ELi1EEEENSD_IJLi1ELi0ELi2EEEESF_Li2ELi16ELi16ELb0ELi0ENSD_IJLi4ELi64ELi1EEEESF_SF_Li2ELi32ELi32ELb0ELi0ELi1ELi1ENSD_IJLi1ELi32ELi1ELi8EEEELi4ELNS_26BlockGemmPipelineSchedulerE0ELNS_24BlockGemmPipelineVersionE2ES6_S6_Lb0ELb0ELi0EEELb1ELNS_25InMemoryDataOperationEnumE0ELi1ELNS_10TailNumberE1EEEvNT_8ArgumentE,comdat
.Lfunc_end10:
	.size	_ZN2ck45kernel_gemm_xdl_cshuffle_v3_b_preshuffle_2ldsINS_41GridwiseGemm_xdl_cshuffle_v3_b_preshuffleINS_13tensor_layout4gemm8RowMajorENS3_11ColumnMajorES4_NS_9f8_fnuz_tENS_7pk_i4_tEfDF16_DF16_NS_16tensor_operation12element_wise11PassThroughESA_SA_LNS8_6device18GemmSpecializationE0ELi256ELi256ELi256ELi128ELi16ELi32ELi16ELi16ELi8ELi4ENS_8SequenceIJLi8ELi32ELi1EEEENSD_IJLi1ELi0ELi2EEEESF_Li2ELi16ELi16ELb0ELi0ENSD_IJLi4ELi64ELi1EEEESF_SF_Li2ELi32ELi32ELb0ELi0ELi1ELi1ENSD_IJLi1ELi32ELi1ELi8EEEELi4ELNS_26BlockGemmPipelineSchedulerE0ELNS_24BlockGemmPipelineVersionE2ES6_S6_Lb0ELb0ELi0EEELb1ELNS_25InMemoryDataOperationEnumE0ELi1ELNS_10TailNumberE1EEEvNT_8ArgumentE, .Lfunc_end10-_ZN2ck45kernel_gemm_xdl_cshuffle_v3_b_preshuffle_2ldsINS_41GridwiseGemm_xdl_cshuffle_v3_b_preshuffleINS_13tensor_layout4gemm8RowMajorENS3_11ColumnMajorES4_NS_9f8_fnuz_tENS_7pk_i4_tEfDF16_DF16_NS_16tensor_operation12element_wise11PassThroughESA_SA_LNS8_6device18GemmSpecializationE0ELi256ELi256ELi256ELi128ELi16ELi32ELi16ELi16ELi8ELi4ENS_8SequenceIJLi8ELi32ELi1EEEENSD_IJLi1ELi0ELi2EEEESF_Li2ELi16ELi16ELb0ELi0ENSD_IJLi4ELi64ELi1EEEESF_SF_Li2ELi32ELi32ELb0ELi0ELi1ELi1ENSD_IJLi1ELi32ELi1ELi8EEEELi4ELNS_26BlockGemmPipelineSchedulerE0ELNS_24BlockGemmPipelineVersionE2ES6_S6_Lb0ELb0ELi0EEELb1ELNS_25InMemoryDataOperationEnumE0ELi1ELNS_10TailNumberE1EEEvNT_8ArgumentE
                                        ; -- End function
	.set _ZN2ck45kernel_gemm_xdl_cshuffle_v3_b_preshuffle_2ldsINS_41GridwiseGemm_xdl_cshuffle_v3_b_preshuffleINS_13tensor_layout4gemm8RowMajorENS3_11ColumnMajorES4_NS_9f8_fnuz_tENS_7pk_i4_tEfDF16_DF16_NS_16tensor_operation12element_wise11PassThroughESA_SA_LNS8_6device18GemmSpecializationE0ELi256ELi256ELi256ELi128ELi16ELi32ELi16ELi16ELi8ELi4ENS_8SequenceIJLi8ELi32ELi1EEEENSD_IJLi1ELi0ELi2EEEESF_Li2ELi16ELi16ELb0ELi0ENSD_IJLi4ELi64ELi1EEEESF_SF_Li2ELi32ELi32ELb0ELi0ELi1ELi1ENSD_IJLi1ELi32ELi1ELi8EEEELi4ELNS_26BlockGemmPipelineSchedulerE0ELNS_24BlockGemmPipelineVersionE2ES6_S6_Lb0ELb0ELi0EEELb1ELNS_25InMemoryDataOperationEnumE0ELi1ELNS_10TailNumberE1EEEvNT_8ArgumentE.num_vgpr, 0
	.set _ZN2ck45kernel_gemm_xdl_cshuffle_v3_b_preshuffle_2ldsINS_41GridwiseGemm_xdl_cshuffle_v3_b_preshuffleINS_13tensor_layout4gemm8RowMajorENS3_11ColumnMajorES4_NS_9f8_fnuz_tENS_7pk_i4_tEfDF16_DF16_NS_16tensor_operation12element_wise11PassThroughESA_SA_LNS8_6device18GemmSpecializationE0ELi256ELi256ELi256ELi128ELi16ELi32ELi16ELi16ELi8ELi4ENS_8SequenceIJLi8ELi32ELi1EEEENSD_IJLi1ELi0ELi2EEEESF_Li2ELi16ELi16ELb0ELi0ENSD_IJLi4ELi64ELi1EEEESF_SF_Li2ELi32ELi32ELb0ELi0ELi1ELi1ENSD_IJLi1ELi32ELi1ELi8EEEELi4ELNS_26BlockGemmPipelineSchedulerE0ELNS_24BlockGemmPipelineVersionE2ES6_S6_Lb0ELb0ELi0EEELb1ELNS_25InMemoryDataOperationEnumE0ELi1ELNS_10TailNumberE1EEEvNT_8ArgumentE.num_agpr, 0
	.set _ZN2ck45kernel_gemm_xdl_cshuffle_v3_b_preshuffle_2ldsINS_41GridwiseGemm_xdl_cshuffle_v3_b_preshuffleINS_13tensor_layout4gemm8RowMajorENS3_11ColumnMajorES4_NS_9f8_fnuz_tENS_7pk_i4_tEfDF16_DF16_NS_16tensor_operation12element_wise11PassThroughESA_SA_LNS8_6device18GemmSpecializationE0ELi256ELi256ELi256ELi128ELi16ELi32ELi16ELi16ELi8ELi4ENS_8SequenceIJLi8ELi32ELi1EEEENSD_IJLi1ELi0ELi2EEEESF_Li2ELi16ELi16ELb0ELi0ENSD_IJLi4ELi64ELi1EEEESF_SF_Li2ELi32ELi32ELb0ELi0ELi1ELi1ENSD_IJLi1ELi32ELi1ELi8EEEELi4ELNS_26BlockGemmPipelineSchedulerE0ELNS_24BlockGemmPipelineVersionE2ES6_S6_Lb0ELb0ELi0EEELb1ELNS_25InMemoryDataOperationEnumE0ELi1ELNS_10TailNumberE1EEEvNT_8ArgumentE.numbered_sgpr, 0
	.set _ZN2ck45kernel_gemm_xdl_cshuffle_v3_b_preshuffle_2ldsINS_41GridwiseGemm_xdl_cshuffle_v3_b_preshuffleINS_13tensor_layout4gemm8RowMajorENS3_11ColumnMajorES4_NS_9f8_fnuz_tENS_7pk_i4_tEfDF16_DF16_NS_16tensor_operation12element_wise11PassThroughESA_SA_LNS8_6device18GemmSpecializationE0ELi256ELi256ELi256ELi128ELi16ELi32ELi16ELi16ELi8ELi4ENS_8SequenceIJLi8ELi32ELi1EEEENSD_IJLi1ELi0ELi2EEEESF_Li2ELi16ELi16ELb0ELi0ENSD_IJLi4ELi64ELi1EEEESF_SF_Li2ELi32ELi32ELb0ELi0ELi1ELi1ENSD_IJLi1ELi32ELi1ELi8EEEELi4ELNS_26BlockGemmPipelineSchedulerE0ELNS_24BlockGemmPipelineVersionE2ES6_S6_Lb0ELb0ELi0EEELb1ELNS_25InMemoryDataOperationEnumE0ELi1ELNS_10TailNumberE1EEEvNT_8ArgumentE.num_named_barrier, 0
	.set _ZN2ck45kernel_gemm_xdl_cshuffle_v3_b_preshuffle_2ldsINS_41GridwiseGemm_xdl_cshuffle_v3_b_preshuffleINS_13tensor_layout4gemm8RowMajorENS3_11ColumnMajorES4_NS_9f8_fnuz_tENS_7pk_i4_tEfDF16_DF16_NS_16tensor_operation12element_wise11PassThroughESA_SA_LNS8_6device18GemmSpecializationE0ELi256ELi256ELi256ELi128ELi16ELi32ELi16ELi16ELi8ELi4ENS_8SequenceIJLi8ELi32ELi1EEEENSD_IJLi1ELi0ELi2EEEESF_Li2ELi16ELi16ELb0ELi0ENSD_IJLi4ELi64ELi1EEEESF_SF_Li2ELi32ELi32ELb0ELi0ELi1ELi1ENSD_IJLi1ELi32ELi1ELi8EEEELi4ELNS_26BlockGemmPipelineSchedulerE0ELNS_24BlockGemmPipelineVersionE2ES6_S6_Lb0ELb0ELi0EEELb1ELNS_25InMemoryDataOperationEnumE0ELi1ELNS_10TailNumberE1EEEvNT_8ArgumentE.private_seg_size, 0
	.set _ZN2ck45kernel_gemm_xdl_cshuffle_v3_b_preshuffle_2ldsINS_41GridwiseGemm_xdl_cshuffle_v3_b_preshuffleINS_13tensor_layout4gemm8RowMajorENS3_11ColumnMajorES4_NS_9f8_fnuz_tENS_7pk_i4_tEfDF16_DF16_NS_16tensor_operation12element_wise11PassThroughESA_SA_LNS8_6device18GemmSpecializationE0ELi256ELi256ELi256ELi128ELi16ELi32ELi16ELi16ELi8ELi4ENS_8SequenceIJLi8ELi32ELi1EEEENSD_IJLi1ELi0ELi2EEEESF_Li2ELi16ELi16ELb0ELi0ENSD_IJLi4ELi64ELi1EEEESF_SF_Li2ELi32ELi32ELb0ELi0ELi1ELi1ENSD_IJLi1ELi32ELi1ELi8EEEELi4ELNS_26BlockGemmPipelineSchedulerE0ELNS_24BlockGemmPipelineVersionE2ES6_S6_Lb0ELb0ELi0EEELb1ELNS_25InMemoryDataOperationEnumE0ELi1ELNS_10TailNumberE1EEEvNT_8ArgumentE.uses_vcc, 0
	.set _ZN2ck45kernel_gemm_xdl_cshuffle_v3_b_preshuffle_2ldsINS_41GridwiseGemm_xdl_cshuffle_v3_b_preshuffleINS_13tensor_layout4gemm8RowMajorENS3_11ColumnMajorES4_NS_9f8_fnuz_tENS_7pk_i4_tEfDF16_DF16_NS_16tensor_operation12element_wise11PassThroughESA_SA_LNS8_6device18GemmSpecializationE0ELi256ELi256ELi256ELi128ELi16ELi32ELi16ELi16ELi8ELi4ENS_8SequenceIJLi8ELi32ELi1EEEENSD_IJLi1ELi0ELi2EEEESF_Li2ELi16ELi16ELb0ELi0ENSD_IJLi4ELi64ELi1EEEESF_SF_Li2ELi32ELi32ELb0ELi0ELi1ELi1ENSD_IJLi1ELi32ELi1ELi8EEEELi4ELNS_26BlockGemmPipelineSchedulerE0ELNS_24BlockGemmPipelineVersionE2ES6_S6_Lb0ELb0ELi0EEELb1ELNS_25InMemoryDataOperationEnumE0ELi1ELNS_10TailNumberE1EEEvNT_8ArgumentE.uses_flat_scratch, 0
	.set _ZN2ck45kernel_gemm_xdl_cshuffle_v3_b_preshuffle_2ldsINS_41GridwiseGemm_xdl_cshuffle_v3_b_preshuffleINS_13tensor_layout4gemm8RowMajorENS3_11ColumnMajorES4_NS_9f8_fnuz_tENS_7pk_i4_tEfDF16_DF16_NS_16tensor_operation12element_wise11PassThroughESA_SA_LNS8_6device18GemmSpecializationE0ELi256ELi256ELi256ELi128ELi16ELi32ELi16ELi16ELi8ELi4ENS_8SequenceIJLi8ELi32ELi1EEEENSD_IJLi1ELi0ELi2EEEESF_Li2ELi16ELi16ELb0ELi0ENSD_IJLi4ELi64ELi1EEEESF_SF_Li2ELi32ELi32ELb0ELi0ELi1ELi1ENSD_IJLi1ELi32ELi1ELi8EEEELi4ELNS_26BlockGemmPipelineSchedulerE0ELNS_24BlockGemmPipelineVersionE2ES6_S6_Lb0ELb0ELi0EEELb1ELNS_25InMemoryDataOperationEnumE0ELi1ELNS_10TailNumberE1EEEvNT_8ArgumentE.has_dyn_sized_stack, 0
	.set _ZN2ck45kernel_gemm_xdl_cshuffle_v3_b_preshuffle_2ldsINS_41GridwiseGemm_xdl_cshuffle_v3_b_preshuffleINS_13tensor_layout4gemm8RowMajorENS3_11ColumnMajorES4_NS_9f8_fnuz_tENS_7pk_i4_tEfDF16_DF16_NS_16tensor_operation12element_wise11PassThroughESA_SA_LNS8_6device18GemmSpecializationE0ELi256ELi256ELi256ELi128ELi16ELi32ELi16ELi16ELi8ELi4ENS_8SequenceIJLi8ELi32ELi1EEEENSD_IJLi1ELi0ELi2EEEESF_Li2ELi16ELi16ELb0ELi0ENSD_IJLi4ELi64ELi1EEEESF_SF_Li2ELi32ELi32ELb0ELi0ELi1ELi1ENSD_IJLi1ELi32ELi1ELi8EEEELi4ELNS_26BlockGemmPipelineSchedulerE0ELNS_24BlockGemmPipelineVersionE2ES6_S6_Lb0ELb0ELi0EEELb1ELNS_25InMemoryDataOperationEnumE0ELi1ELNS_10TailNumberE1EEEvNT_8ArgumentE.has_recursion, 0
	.set _ZN2ck45kernel_gemm_xdl_cshuffle_v3_b_preshuffle_2ldsINS_41GridwiseGemm_xdl_cshuffle_v3_b_preshuffleINS_13tensor_layout4gemm8RowMajorENS3_11ColumnMajorES4_NS_9f8_fnuz_tENS_7pk_i4_tEfDF16_DF16_NS_16tensor_operation12element_wise11PassThroughESA_SA_LNS8_6device18GemmSpecializationE0ELi256ELi256ELi256ELi128ELi16ELi32ELi16ELi16ELi8ELi4ENS_8SequenceIJLi8ELi32ELi1EEEENSD_IJLi1ELi0ELi2EEEESF_Li2ELi16ELi16ELb0ELi0ENSD_IJLi4ELi64ELi1EEEESF_SF_Li2ELi32ELi32ELb0ELi0ELi1ELi1ENSD_IJLi1ELi32ELi1ELi8EEEELi4ELNS_26BlockGemmPipelineSchedulerE0ELNS_24BlockGemmPipelineVersionE2ES6_S6_Lb0ELb0ELi0EEELb1ELNS_25InMemoryDataOperationEnumE0ELi1ELNS_10TailNumberE1EEEvNT_8ArgumentE.has_indirect_call, 0
	.section	.AMDGPU.csdata,"",@progbits
; Kernel info:
; codeLenInByte = 4
; TotalNumSgprs: 6
; NumVgprs: 0
; NumAgprs: 0
; TotalNumVgprs: 0
; ScratchSize: 0
; MemoryBound: 0
; FloatMode: 240
; IeeeMode: 1
; LDSByteSize: 0 bytes/workgroup (compile time only)
; SGPRBlocks: 0
; VGPRBlocks: 0
; NumSGPRsForWavesPerEU: 6
; NumVGPRsForWavesPerEU: 1
; AccumOffset: 4
; Occupancy: 8
; WaveLimiterHint : 0
; COMPUTE_PGM_RSRC2:SCRATCH_EN: 0
; COMPUTE_PGM_RSRC2:USER_SGPR: 2
; COMPUTE_PGM_RSRC2:TRAP_HANDLER: 0
; COMPUTE_PGM_RSRC2:TGID_X_EN: 1
; COMPUTE_PGM_RSRC2:TGID_Y_EN: 0
; COMPUTE_PGM_RSRC2:TGID_Z_EN: 0
; COMPUTE_PGM_RSRC2:TIDIG_COMP_CNT: 0
; COMPUTE_PGM_RSRC3_GFX90A:ACCUM_OFFSET: 0
; COMPUTE_PGM_RSRC3_GFX90A:TG_SPLIT: 0
	.text
	.p2alignl 6, 3212836864
	.fill 256, 4, 3212836864
	.section	.AMDGPU.gpr_maximums,"",@progbits
	.set amdgpu.max_num_vgpr, 256
	.set amdgpu.max_num_agpr, 54
	.set amdgpu.max_num_sgpr, 32
	.text
	.protected	_ZN2ck41GridwiseGemm_xdl_cshuffle_v3_b_preshuffleINS_13tensor_layout4gemm8RowMajorENS2_11ColumnMajorES3_NS_9f8_fnuz_tENS_7pk_i4_tEfDF16_DF16_NS_16tensor_operation12element_wise11PassThroughES9_S9_LNS7_6device18GemmSpecializationE0ELi256ELi256ELi256ELi128ELi16ELi32ELi16ELi16ELi8ELi8ENS_8SequenceIJLi8ELi32ELi1EEEENSC_IJLi1ELi0ELi2EEEESE_Li2ELi16ELi16ELb0ELi0ENSC_IJLi4ELi64ELi1EEEESE_SE_Li2ELi32ELi32ELb0ELi0ELi1ELi1ENSC_IJLi1ELi32ELi1ELi8EEEELi4ELNS_26BlockGemmPipelineSchedulerE0ELNS_24BlockGemmPipelineVersionE2ES5_S5_Lb0ELb0ELi0EE5NWaveE ; @_ZN2ck41GridwiseGemm_xdl_cshuffle_v3_b_preshuffleINS_13tensor_layout4gemm8RowMajorENS2_11ColumnMajorES3_NS_9f8_fnuz_tENS_7pk_i4_tEfDF16_DF16_NS_16tensor_operation12element_wise11PassThroughES9_S9_LNS7_6device18GemmSpecializationE0ELi256ELi256ELi256ELi128ELi16ELi32ELi16ELi16ELi8ELi8ENS_8SequenceIJLi8ELi32ELi1EEEENSC_IJLi1ELi0ELi2EEEESE_Li2ELi16ELi16ELb0ELi0ENSC_IJLi4ELi64ELi1EEEESE_SE_Li2ELi32ELi32ELb0ELi0ELi1ELi1ENSC_IJLi1ELi32ELi1ELi8EEEELi4ELNS_26BlockGemmPipelineSchedulerE0ELNS_24BlockGemmPipelineVersionE2ES5_S5_Lb0ELb0ELi0EE5NWaveE
	.type	_ZN2ck41GridwiseGemm_xdl_cshuffle_v3_b_preshuffleINS_13tensor_layout4gemm8RowMajorENS2_11ColumnMajorES3_NS_9f8_fnuz_tENS_7pk_i4_tEfDF16_DF16_NS_16tensor_operation12element_wise11PassThroughES9_S9_LNS7_6device18GemmSpecializationE0ELi256ELi256ELi256ELi128ELi16ELi32ELi16ELi16ELi8ELi8ENS_8SequenceIJLi8ELi32ELi1EEEENSC_IJLi1ELi0ELi2EEEESE_Li2ELi16ELi16ELb0ELi0ENSC_IJLi4ELi64ELi1EEEESE_SE_Li2ELi32ELi32ELb0ELi0ELi1ELi1ENSC_IJLi1ELi32ELi1ELi8EEEELi4ELNS_26BlockGemmPipelineSchedulerE0ELNS_24BlockGemmPipelineVersionE2ES5_S5_Lb0ELb0ELi0EE5NWaveE,@object
	.section	.rodata._ZN2ck41GridwiseGemm_xdl_cshuffle_v3_b_preshuffleINS_13tensor_layout4gemm8RowMajorENS2_11ColumnMajorES3_NS_9f8_fnuz_tENS_7pk_i4_tEfDF16_DF16_NS_16tensor_operation12element_wise11PassThroughES9_S9_LNS7_6device18GemmSpecializationE0ELi256ELi256ELi256ELi128ELi16ELi32ELi16ELi16ELi8ELi8ENS_8SequenceIJLi8ELi32ELi1EEEENSC_IJLi1ELi0ELi2EEEESE_Li2ELi16ELi16ELb0ELi0ENSC_IJLi4ELi64ELi1EEEESE_SE_Li2ELi32ELi32ELb0ELi0ELi1ELi1ENSC_IJLi1ELi32ELi1ELi8EEEELi4ELNS_26BlockGemmPipelineSchedulerE0ELNS_24BlockGemmPipelineVersionE2ES5_S5_Lb0ELb0ELi0EE5NWaveE,"aG",@progbits,_ZN2ck41GridwiseGemm_xdl_cshuffle_v3_b_preshuffleINS_13tensor_layout4gemm8RowMajorENS2_11ColumnMajorES3_NS_9f8_fnuz_tENS_7pk_i4_tEfDF16_DF16_NS_16tensor_operation12element_wise11PassThroughES9_S9_LNS7_6device18GemmSpecializationE0ELi256ELi256ELi256ELi128ELi16ELi32ELi16ELi16ELi8ELi8ENS_8SequenceIJLi8ELi32ELi1EEEENSC_IJLi1ELi0ELi2EEEESE_Li2ELi16ELi16ELb0ELi0ENSC_IJLi4ELi64ELi1EEEESE_SE_Li2ELi32ELi32ELb0ELi0ELi1ELi1ENSC_IJLi1ELi32ELi1ELi8EEEELi4ELNS_26BlockGemmPipelineSchedulerE0ELNS_24BlockGemmPipelineVersionE2ES5_S5_Lb0ELb0ELi0EE5NWaveE,comdat
	.weak	_ZN2ck41GridwiseGemm_xdl_cshuffle_v3_b_preshuffleINS_13tensor_layout4gemm8RowMajorENS2_11ColumnMajorES3_NS_9f8_fnuz_tENS_7pk_i4_tEfDF16_DF16_NS_16tensor_operation12element_wise11PassThroughES9_S9_LNS7_6device18GemmSpecializationE0ELi256ELi256ELi256ELi128ELi16ELi32ELi16ELi16ELi8ELi8ENS_8SequenceIJLi8ELi32ELi1EEEENSC_IJLi1ELi0ELi2EEEESE_Li2ELi16ELi16ELb0ELi0ENSC_IJLi4ELi64ELi1EEEESE_SE_Li2ELi32ELi32ELb0ELi0ELi1ELi1ENSC_IJLi1ELi32ELi1ELi8EEEELi4ELNS_26BlockGemmPipelineSchedulerE0ELNS_24BlockGemmPipelineVersionE2ES5_S5_Lb0ELb0ELi0EE5NWaveE
	.p2align	2, 0x0
_ZN2ck41GridwiseGemm_xdl_cshuffle_v3_b_preshuffleINS_13tensor_layout4gemm8RowMajorENS2_11ColumnMajorES3_NS_9f8_fnuz_tENS_7pk_i4_tEfDF16_DF16_NS_16tensor_operation12element_wise11PassThroughES9_S9_LNS7_6device18GemmSpecializationE0ELi256ELi256ELi256ELi128ELi16ELi32ELi16ELi16ELi8ELi8ENS_8SequenceIJLi8ELi32ELi1EEEENSC_IJLi1ELi0ELi2EEEESE_Li2ELi16ELi16ELb0ELi0ENSC_IJLi4ELi64ELi1EEEESE_SE_Li2ELi32ELi32ELb0ELi0ELi1ELi1ENSC_IJLi1ELi32ELi1ELi8EEEELi4ELNS_26BlockGemmPipelineSchedulerE0ELNS_24BlockGemmPipelineVersionE2ES5_S5_Lb0ELb0ELi0EE5NWaveE:
	.long	2                               ; 0x2
	.size	_ZN2ck41GridwiseGemm_xdl_cshuffle_v3_b_preshuffleINS_13tensor_layout4gemm8RowMajorENS2_11ColumnMajorES3_NS_9f8_fnuz_tENS_7pk_i4_tEfDF16_DF16_NS_16tensor_operation12element_wise11PassThroughES9_S9_LNS7_6device18GemmSpecializationE0ELi256ELi256ELi256ELi128ELi16ELi32ELi16ELi16ELi8ELi8ENS_8SequenceIJLi8ELi32ELi1EEEENSC_IJLi1ELi0ELi2EEEESE_Li2ELi16ELi16ELb0ELi0ENSC_IJLi4ELi64ELi1EEEESE_SE_Li2ELi32ELi32ELb0ELi0ELi1ELi1ENSC_IJLi1ELi32ELi1ELi8EEEELi4ELNS_26BlockGemmPipelineSchedulerE0ELNS_24BlockGemmPipelineVersionE2ES5_S5_Lb0ELb0ELi0EE5NWaveE, 4

	.type	__const._ZN2ck41GridwiseGemm_xdl_cshuffle_v3_b_preshuffleINS_13tensor_layout4gemm8RowMajorENS2_11ColumnMajorES3_NS_9f8_fnuz_tENS_7pk_i4_tEfDF16_DF16_NS_16tensor_operation12element_wise11PassThroughES9_S9_LNS7_6device18GemmSpecializationE0ELi256ELi256ELi256ELi128ELi16ELi32ELi16ELi16ELi8ELi8ENS_8SequenceIJLi8ELi32ELi1EEEENSC_IJLi1ELi0ELi2EEEESE_Li2ELi16ELi16ELb0ELi0ENSC_IJLi4ELi64ELi1EEEESE_SE_Li2ELi32ELi32ELb0ELi0ELi1ELi1ENSC_IJLi1ELi32ELi1ELi8EEEELi4ELNS_26BlockGemmPipelineSchedulerE0ELNS_24BlockGemmPipelineVersionE2ES5_S5_Lb0ELb0ELi0EE8Run_2LdsIKNS_16TensorDescriptorINS_5TupleIJNS_5EmbedINSM_IJiiEEENSM_IJiNS_17integral_constantIiLi1EEEEEELb0EEENS_7UnMergeISO_Lb0EEENS_11PassThroughIiEEEEENSM_IJNSC_IJLi0EEEENSC_IJLi2EEEENSC_IJLi1EEEEEEENSM_IJNSC_IJLi1ELi2EEEENSC_IJLi3ELi4EEEENSC_IJLi5EEEEEEENSC_IJLi3ELi5ELi4EEEElEEKNSL_INSM_IJNSN_INSM_IJiiiiEEENSM_IJiiiSQ_EEELb0EEEEEENSM_IJSY_EEENSM_IJNSC_IJLi1ELi2ELi3ELi4EEEEEEES1E_lEEKNSL_INSM_IJSS_NS_8RightPadIiiLb0EEES1J_NST_INSM_IJiNSP_IiLi256EEEEEELb0EEES1M_EEENSM_IJSY_S10_SZ_NSC_IJLi3EEEENSC_IJLi4EEEEEEENSM_IJS12_S1O_S1P_NSC_IJLi5ELi6EEEENSC_IJLi7ELi8EEEEEEENSC_IJLi5ELi6ELi7ELi8EEEElEELb1ELNS_25InMemoryDataOperationEnumE1ELNS_10TailNumberE0EEEvPKS5_PKS6_PDF16_PvS24_RKNSJ_7ProblemERKT_RKT0_RKT1_i.a_block_slice_copy_step,@object ; @__const._ZN2ck41GridwiseGemm_xdl_cshuffle_v3_b_preshuffleINS_13tensor_layout4gemm8RowMajorENS2_11ColumnMajorES3_NS_9f8_fnuz_tENS_7pk_i4_tEfDF16_DF16_NS_16tensor_operation12element_wise11PassThroughES9_S9_LNS7_6device18GemmSpecializationE0ELi256ELi256ELi256ELi128ELi16ELi32ELi16ELi16ELi8ELi8ENS_8SequenceIJLi8ELi32ELi1EEEENSC_IJLi1ELi0ELi2EEEESE_Li2ELi16ELi16ELb0ELi0ENSC_IJLi4ELi64ELi1EEEESE_SE_Li2ELi32ELi32ELb0ELi0ELi1ELi1ENSC_IJLi1ELi32ELi1ELi8EEEELi4ELNS_26BlockGemmPipelineSchedulerE0ELNS_24BlockGemmPipelineVersionE2ES5_S5_Lb0ELb0ELi0EE8Run_2LdsIKNS_16TensorDescriptorINS_5TupleIJNS_5EmbedINSM_IJiiEEENSM_IJiNS_17integral_constantIiLi1EEEEEELb0EEENS_7UnMergeISO_Lb0EEENS_11PassThroughIiEEEEENSM_IJNSC_IJLi0EEEENSC_IJLi2EEEENSC_IJLi1EEEEEEENSM_IJNSC_IJLi1ELi2EEEENSC_IJLi3ELi4EEEENSC_IJLi5EEEEEEENSC_IJLi3ELi5ELi4EEEElEEKNSL_INSM_IJNSN_INSM_IJiiiiEEENSM_IJiiiSQ_EEELb0EEEEEENSM_IJSY_EEENSM_IJNSC_IJLi1ELi2ELi3ELi4EEEEEEES1E_lEEKNSL_INSM_IJSS_NS_8RightPadIiiLb0EEES1J_NST_INSM_IJiNSP_IiLi256EEEEEELb0EEES1M_EEENSM_IJSY_S10_SZ_NSC_IJLi3EEEENSC_IJLi4EEEEEEENSM_IJS12_S1O_S1P_NSC_IJLi5ELi6EEEENSC_IJLi7ELi8EEEEEEENSC_IJLi5ELi6ELi7ELi8EEEElEELb1ELNS_25InMemoryDataOperationEnumE1ELNS_10TailNumberE0EEEvPKS5_PKS6_PDF16_PvS24_RKNSJ_7ProblemERKT_RKT0_RKT1_i.a_block_slice_copy_step
	.section	.rodata,"a",@progbits
	.p2align	2, 0x0
__const._ZN2ck41GridwiseGemm_xdl_cshuffle_v3_b_preshuffleINS_13tensor_layout4gemm8RowMajorENS2_11ColumnMajorES3_NS_9f8_fnuz_tENS_7pk_i4_tEfDF16_DF16_NS_16tensor_operation12element_wise11PassThroughES9_S9_LNS7_6device18GemmSpecializationE0ELi256ELi256ELi256ELi128ELi16ELi32ELi16ELi16ELi8ELi8ENS_8SequenceIJLi8ELi32ELi1EEEENSC_IJLi1ELi0ELi2EEEESE_Li2ELi16ELi16ELb0ELi0ENSC_IJLi4ELi64ELi1EEEESE_SE_Li2ELi32ELi32ELb0ELi0ELi1ELi1ENSC_IJLi1ELi32ELi1ELi8EEEELi4ELNS_26BlockGemmPipelineSchedulerE0ELNS_24BlockGemmPipelineVersionE2ES5_S5_Lb0ELb0ELi0EE8Run_2LdsIKNS_16TensorDescriptorINS_5TupleIJNS_5EmbedINSM_IJiiEEENSM_IJiNS_17integral_constantIiLi1EEEEEELb0EEENS_7UnMergeISO_Lb0EEENS_11PassThroughIiEEEEENSM_IJNSC_IJLi0EEEENSC_IJLi2EEEENSC_IJLi1EEEEEEENSM_IJNSC_IJLi1ELi2EEEENSC_IJLi3ELi4EEEENSC_IJLi5EEEEEEENSC_IJLi3ELi5ELi4EEEElEEKNSL_INSM_IJNSN_INSM_IJiiiiEEENSM_IJiiiSQ_EEELb0EEEEEENSM_IJSY_EEENSM_IJNSC_IJLi1ELi2ELi3ELi4EEEEEEES1E_lEEKNSL_INSM_IJSS_NS_8RightPadIiiLb0EEES1J_NST_INSM_IJiNSP_IiLi256EEEEEELb0EEES1M_EEENSM_IJSY_S10_SZ_NSC_IJLi3EEEENSC_IJLi4EEEEEEENSM_IJS12_S1O_S1P_NSC_IJLi5ELi6EEEENSC_IJLi7ELi8EEEEEEENSC_IJLi5ELi6ELi7ELi8EEEElEELb1ELNS_25InMemoryDataOperationEnumE1ELNS_10TailNumberE0EEEvPKS5_PKS6_PDF16_PvS24_RKNSJ_7ProblemERKT_RKT0_RKT1_i.a_block_slice_copy_step:
	.long	8                               ; 0x8
	.long	0                               ; 0x0
	;; [unrolled: 1-line block ×3, first 2 shown]
	.size	__const._ZN2ck41GridwiseGemm_xdl_cshuffle_v3_b_preshuffleINS_13tensor_layout4gemm8RowMajorENS2_11ColumnMajorES3_NS_9f8_fnuz_tENS_7pk_i4_tEfDF16_DF16_NS_16tensor_operation12element_wise11PassThroughES9_S9_LNS7_6device18GemmSpecializationE0ELi256ELi256ELi256ELi128ELi16ELi32ELi16ELi16ELi8ELi8ENS_8SequenceIJLi8ELi32ELi1EEEENSC_IJLi1ELi0ELi2EEEESE_Li2ELi16ELi16ELb0ELi0ENSC_IJLi4ELi64ELi1EEEESE_SE_Li2ELi32ELi32ELb0ELi0ELi1ELi1ENSC_IJLi1ELi32ELi1ELi8EEEELi4ELNS_26BlockGemmPipelineSchedulerE0ELNS_24BlockGemmPipelineVersionE2ES5_S5_Lb0ELb0ELi0EE8Run_2LdsIKNS_16TensorDescriptorINS_5TupleIJNS_5EmbedINSM_IJiiEEENSM_IJiNS_17integral_constantIiLi1EEEEEELb0EEENS_7UnMergeISO_Lb0EEENS_11PassThroughIiEEEEENSM_IJNSC_IJLi0EEEENSC_IJLi2EEEENSC_IJLi1EEEEEEENSM_IJNSC_IJLi1ELi2EEEENSC_IJLi3ELi4EEEENSC_IJLi5EEEEEEENSC_IJLi3ELi5ELi4EEEElEEKNSL_INSM_IJNSN_INSM_IJiiiiEEENSM_IJiiiSQ_EEELb0EEEEEENSM_IJSY_EEENSM_IJNSC_IJLi1ELi2ELi3ELi4EEEEEEES1E_lEEKNSL_INSM_IJSS_NS_8RightPadIiiLb0EEES1J_NST_INSM_IJiNSP_IiLi256EEEEEELb0EEES1M_EEENSM_IJSY_S10_SZ_NSC_IJLi3EEEENSC_IJLi4EEEEEEENSM_IJS12_S1O_S1P_NSC_IJLi5ELi6EEEENSC_IJLi7ELi8EEEEEEENSC_IJLi5ELi6ELi7ELi8EEEElEELb1ELNS_25InMemoryDataOperationEnumE1ELNS_10TailNumberE0EEEvPKS5_PKS6_PDF16_PvS24_RKNSJ_7ProblemERKT_RKT0_RKT1_i.a_block_slice_copy_step, 12

	.type	__const._ZN2ck41GridwiseGemm_xdl_cshuffle_v3_b_preshuffleINS_13tensor_layout4gemm8RowMajorENS2_11ColumnMajorES3_NS_9f8_fnuz_tENS_7pk_i4_tEfDF16_DF16_NS_16tensor_operation12element_wise11PassThroughES9_S9_LNS7_6device18GemmSpecializationE0ELi256ELi256ELi256ELi128ELi16ELi32ELi16ELi16ELi8ELi8ENS_8SequenceIJLi8ELi32ELi1EEEENSC_IJLi1ELi0ELi2EEEESE_Li2ELi16ELi16ELb0ELi0ENSC_IJLi4ELi64ELi1EEEESE_SE_Li2ELi32ELi32ELb0ELi0ELi1ELi1ENSC_IJLi1ELi32ELi1ELi8EEEELi4ELNS_26BlockGemmPipelineSchedulerE0ELNS_24BlockGemmPipelineVersionE2ES5_S5_Lb0ELb0ELi0EE8Run_2LdsIKNS_16TensorDescriptorINS_5TupleIJNS_5EmbedINSM_IJiiEEENSM_IJiNS_17integral_constantIiLi1EEEEEELb0EEENS_7UnMergeISO_Lb0EEENS_11PassThroughIiEEEEENSM_IJNSC_IJLi0EEEENSC_IJLi2EEEENSC_IJLi1EEEEEEENSM_IJNSC_IJLi1ELi2EEEENSC_IJLi3ELi4EEEENSC_IJLi5EEEEEEENSC_IJLi3ELi5ELi4EEEElEEKNSL_INSM_IJNSN_INSM_IJiiiiEEENSM_IJiiiSQ_EEELb0EEEEEENSM_IJSY_EEENSM_IJNSC_IJLi1ELi2ELi3ELi4EEEEEEES1E_lEEKNSL_INSM_IJSS_NS_8RightPadIiiLb0EEES1J_NST_INSM_IJiNSP_IiLi256EEEEEELb0EEES1M_EEENSM_IJSY_S10_SZ_NSC_IJLi3EEEENSC_IJLi4EEEEEEENSM_IJS12_S1O_S1P_NSC_IJLi5ELi6EEEENSC_IJLi7ELi8EEEEEEENSC_IJLi5ELi6ELi7ELi8EEEElEELb1ELNS_25InMemoryDataOperationEnumE1ELNS_10TailNumberE0EEEvPKS5_PKS6_PDF16_PvS24_RKNSJ_7ProblemERKT_RKT0_RKT1_i.b_block_slice_copy_step,@object ; @__const._ZN2ck41GridwiseGemm_xdl_cshuffle_v3_b_preshuffleINS_13tensor_layout4gemm8RowMajorENS2_11ColumnMajorES3_NS_9f8_fnuz_tENS_7pk_i4_tEfDF16_DF16_NS_16tensor_operation12element_wise11PassThroughES9_S9_LNS7_6device18GemmSpecializationE0ELi256ELi256ELi256ELi128ELi16ELi32ELi16ELi16ELi8ELi8ENS_8SequenceIJLi8ELi32ELi1EEEENSC_IJLi1ELi0ELi2EEEESE_Li2ELi16ELi16ELb0ELi0ENSC_IJLi4ELi64ELi1EEEESE_SE_Li2ELi32ELi32ELb0ELi0ELi1ELi1ENSC_IJLi1ELi32ELi1ELi8EEEELi4ELNS_26BlockGemmPipelineSchedulerE0ELNS_24BlockGemmPipelineVersionE2ES5_S5_Lb0ELb0ELi0EE8Run_2LdsIKNS_16TensorDescriptorINS_5TupleIJNS_5EmbedINSM_IJiiEEENSM_IJiNS_17integral_constantIiLi1EEEEEELb0EEENS_7UnMergeISO_Lb0EEENS_11PassThroughIiEEEEENSM_IJNSC_IJLi0EEEENSC_IJLi2EEEENSC_IJLi1EEEEEEENSM_IJNSC_IJLi1ELi2EEEENSC_IJLi3ELi4EEEENSC_IJLi5EEEEEEENSC_IJLi3ELi5ELi4EEEElEEKNSL_INSM_IJNSN_INSM_IJiiiiEEENSM_IJiiiSQ_EEELb0EEEEEENSM_IJSY_EEENSM_IJNSC_IJLi1ELi2ELi3ELi4EEEEEEES1E_lEEKNSL_INSM_IJSS_NS_8RightPadIiiLb0EEES1J_NST_INSM_IJiNSP_IiLi256EEEEEELb0EEES1M_EEENSM_IJSY_S10_SZ_NSC_IJLi3EEEENSC_IJLi4EEEEEEENSM_IJS12_S1O_S1P_NSC_IJLi5ELi6EEEENSC_IJLi7ELi8EEEEEEENSC_IJLi5ELi6ELi7ELi8EEEElEELb1ELNS_25InMemoryDataOperationEnumE1ELNS_10TailNumberE0EEEvPKS5_PKS6_PDF16_PvS24_RKNSJ_7ProblemERKT_RKT0_RKT1_i.b_block_slice_copy_step
	.section	.rodata.cst16,"aM",@progbits,16
	.p2align	2, 0x0
__const._ZN2ck41GridwiseGemm_xdl_cshuffle_v3_b_preshuffleINS_13tensor_layout4gemm8RowMajorENS2_11ColumnMajorES3_NS_9f8_fnuz_tENS_7pk_i4_tEfDF16_DF16_NS_16tensor_operation12element_wise11PassThroughES9_S9_LNS7_6device18GemmSpecializationE0ELi256ELi256ELi256ELi128ELi16ELi32ELi16ELi16ELi8ELi8ENS_8SequenceIJLi8ELi32ELi1EEEENSC_IJLi1ELi0ELi2EEEESE_Li2ELi16ELi16ELb0ELi0ENSC_IJLi4ELi64ELi1EEEESE_SE_Li2ELi32ELi32ELb0ELi0ELi1ELi1ENSC_IJLi1ELi32ELi1ELi8EEEELi4ELNS_26BlockGemmPipelineSchedulerE0ELNS_24BlockGemmPipelineVersionE2ES5_S5_Lb0ELb0ELi0EE8Run_2LdsIKNS_16TensorDescriptorINS_5TupleIJNS_5EmbedINSM_IJiiEEENSM_IJiNS_17integral_constantIiLi1EEEEEELb0EEENS_7UnMergeISO_Lb0EEENS_11PassThroughIiEEEEENSM_IJNSC_IJLi0EEEENSC_IJLi2EEEENSC_IJLi1EEEEEEENSM_IJNSC_IJLi1ELi2EEEENSC_IJLi3ELi4EEEENSC_IJLi5EEEEEEENSC_IJLi3ELi5ELi4EEEElEEKNSL_INSM_IJNSN_INSM_IJiiiiEEENSM_IJiiiSQ_EEELb0EEEEEENSM_IJSY_EEENSM_IJNSC_IJLi1ELi2ELi3ELi4EEEEEEES1E_lEEKNSL_INSM_IJSS_NS_8RightPadIiiLb0EEES1J_NST_INSM_IJiNSP_IiLi256EEEEEELb0EEES1M_EEENSM_IJSY_S10_SZ_NSC_IJLi3EEEENSC_IJLi4EEEEEEENSM_IJS12_S1O_S1P_NSC_IJLi5ELi6EEEENSC_IJLi7ELi8EEEEEEENSC_IJLi5ELi6ELi7ELi8EEEElEELb1ELNS_25InMemoryDataOperationEnumE1ELNS_10TailNumberE0EEEvPKS5_PKS6_PDF16_PvS24_RKNSJ_7ProblemERKT_RKT0_RKT1_i.b_block_slice_copy_step:
	.long	0                               ; 0x0
	.long	0                               ; 0x0
	;; [unrolled: 1-line block ×4, first 2 shown]
	.size	__const._ZN2ck41GridwiseGemm_xdl_cshuffle_v3_b_preshuffleINS_13tensor_layout4gemm8RowMajorENS2_11ColumnMajorES3_NS_9f8_fnuz_tENS_7pk_i4_tEfDF16_DF16_NS_16tensor_operation12element_wise11PassThroughES9_S9_LNS7_6device18GemmSpecializationE0ELi256ELi256ELi256ELi128ELi16ELi32ELi16ELi16ELi8ELi8ENS_8SequenceIJLi8ELi32ELi1EEEENSC_IJLi1ELi0ELi2EEEESE_Li2ELi16ELi16ELb0ELi0ENSC_IJLi4ELi64ELi1EEEESE_SE_Li2ELi32ELi32ELb0ELi0ELi1ELi1ENSC_IJLi1ELi32ELi1ELi8EEEELi4ELNS_26BlockGemmPipelineSchedulerE0ELNS_24BlockGemmPipelineVersionE2ES5_S5_Lb0ELb0ELi0EE8Run_2LdsIKNS_16TensorDescriptorINS_5TupleIJNS_5EmbedINSM_IJiiEEENSM_IJiNS_17integral_constantIiLi1EEEEEELb0EEENS_7UnMergeISO_Lb0EEENS_11PassThroughIiEEEEENSM_IJNSC_IJLi0EEEENSC_IJLi2EEEENSC_IJLi1EEEEEEENSM_IJNSC_IJLi1ELi2EEEENSC_IJLi3ELi4EEEENSC_IJLi5EEEEEEENSC_IJLi3ELi5ELi4EEEElEEKNSL_INSM_IJNSN_INSM_IJiiiiEEENSM_IJiiiSQ_EEELb0EEEEEENSM_IJSY_EEENSM_IJNSC_IJLi1ELi2ELi3ELi4EEEEEEES1E_lEEKNSL_INSM_IJSS_NS_8RightPadIiiLb0EEES1J_NST_INSM_IJiNSP_IiLi256EEEEEELb0EEES1M_EEENSM_IJSY_S10_SZ_NSC_IJLi3EEEENSC_IJLi4EEEEEEENSM_IJS12_S1O_S1P_NSC_IJLi5ELi6EEEENSC_IJLi7ELi8EEEEEEENSC_IJLi5ELi6ELi7ELi8EEEElEELb1ELNS_25InMemoryDataOperationEnumE1ELNS_10TailNumberE0EEEvPKS5_PKS6_PDF16_PvS24_RKNSJ_7ProblemERKT_RKT0_RKT1_i.b_block_slice_copy_step, 16

	.type	__const._ZN2ck41GridwiseGemm_xdl_cshuffle_v3_b_preshuffleINS_13tensor_layout4gemm8RowMajorENS2_11ColumnMajorES3_NS_9f8_fnuz_tENS_7pk_i4_tEfDF16_DF16_NS_16tensor_operation12element_wise11PassThroughES9_S9_LNS7_6device18GemmSpecializationE0ELi256ELi256ELi256ELi128ELi16ELi32ELi16ELi16ELi8ELi8ENS_8SequenceIJLi8ELi32ELi1EEEENSC_IJLi1ELi0ELi2EEEESE_Li2ELi16ELi16ELb0ELi0ENSC_IJLi4ELi64ELi1EEEESE_SE_Li2ELi32ELi32ELb0ELi0ELi1ELi1ENSC_IJLi1ELi32ELi1ELi8EEEELi4ELNS_26BlockGemmPipelineSchedulerE0ELNS_24BlockGemmPipelineVersionE2ES5_S5_Lb0ELb0ELi0EE8Run_2LdsIKNS_16TensorDescriptorINS_5TupleIJNS_5EmbedINSM_IJiiEEENSM_IJiNS_17integral_constantIiLi1EEEEEELb0EEENS_7UnMergeISO_Lb0EEENS_11PassThroughIiEEEEENSM_IJNSC_IJLi0EEEENSC_IJLi2EEEENSC_IJLi1EEEEEEENSM_IJNSC_IJLi1ELi2EEEENSC_IJLi3ELi4EEEENSC_IJLi5EEEEEEENSC_IJLi3ELi5ELi4EEEElEEKNSL_INSM_IJNSN_INSM_IJiiiiEEENSM_IJiiiSQ_EEELb0EEEEEENSM_IJSY_EEENSM_IJNSC_IJLi1ELi2ELi3ELi4EEEEEEES1E_lEEKNSL_INSM_IJSS_NS_8RightPadIiiLb0EEES1J_NST_INSM_IJiNSP_IiLi256EEEEEELb0EEES1M_EEENSM_IJSY_S10_SZ_NSC_IJLi3EEEENSC_IJLi4EEEEEEENSM_IJS12_S1O_S1P_NSC_IJLi5ELi6EEEENSC_IJLi7ELi8EEEEEEENSC_IJLi5ELi6ELi7ELi8EEEElEELb1ELNS_25InMemoryDataOperationEnumE1ELNS_10TailNumberE1EEEvPKS5_PKS6_PDF16_PvS24_RKNSJ_7ProblemERKT_RKT0_RKT1_i.a_block_slice_copy_step,@object ; @__const._ZN2ck41GridwiseGemm_xdl_cshuffle_v3_b_preshuffleINS_13tensor_layout4gemm8RowMajorENS2_11ColumnMajorES3_NS_9f8_fnuz_tENS_7pk_i4_tEfDF16_DF16_NS_16tensor_operation12element_wise11PassThroughES9_S9_LNS7_6device18GemmSpecializationE0ELi256ELi256ELi256ELi128ELi16ELi32ELi16ELi16ELi8ELi8ENS_8SequenceIJLi8ELi32ELi1EEEENSC_IJLi1ELi0ELi2EEEESE_Li2ELi16ELi16ELb0ELi0ENSC_IJLi4ELi64ELi1EEEESE_SE_Li2ELi32ELi32ELb0ELi0ELi1ELi1ENSC_IJLi1ELi32ELi1ELi8EEEELi4ELNS_26BlockGemmPipelineSchedulerE0ELNS_24BlockGemmPipelineVersionE2ES5_S5_Lb0ELb0ELi0EE8Run_2LdsIKNS_16TensorDescriptorINS_5TupleIJNS_5EmbedINSM_IJiiEEENSM_IJiNS_17integral_constantIiLi1EEEEEELb0EEENS_7UnMergeISO_Lb0EEENS_11PassThroughIiEEEEENSM_IJNSC_IJLi0EEEENSC_IJLi2EEEENSC_IJLi1EEEEEEENSM_IJNSC_IJLi1ELi2EEEENSC_IJLi3ELi4EEEENSC_IJLi5EEEEEEENSC_IJLi3ELi5ELi4EEEElEEKNSL_INSM_IJNSN_INSM_IJiiiiEEENSM_IJiiiSQ_EEELb0EEEEEENSM_IJSY_EEENSM_IJNSC_IJLi1ELi2ELi3ELi4EEEEEEES1E_lEEKNSL_INSM_IJSS_NS_8RightPadIiiLb0EEES1J_NST_INSM_IJiNSP_IiLi256EEEEEELb0EEES1M_EEENSM_IJSY_S10_SZ_NSC_IJLi3EEEENSC_IJLi4EEEEEEENSM_IJS12_S1O_S1P_NSC_IJLi5ELi6EEEENSC_IJLi7ELi8EEEEEEENSC_IJLi5ELi6ELi7ELi8EEEElEELb1ELNS_25InMemoryDataOperationEnumE1ELNS_10TailNumberE1EEEvPKS5_PKS6_PDF16_PvS24_RKNSJ_7ProblemERKT_RKT0_RKT1_i.a_block_slice_copy_step
	.section	.rodata,"a",@progbits
	.p2align	2, 0x0
__const._ZN2ck41GridwiseGemm_xdl_cshuffle_v3_b_preshuffleINS_13tensor_layout4gemm8RowMajorENS2_11ColumnMajorES3_NS_9f8_fnuz_tENS_7pk_i4_tEfDF16_DF16_NS_16tensor_operation12element_wise11PassThroughES9_S9_LNS7_6device18GemmSpecializationE0ELi256ELi256ELi256ELi128ELi16ELi32ELi16ELi16ELi8ELi8ENS_8SequenceIJLi8ELi32ELi1EEEENSC_IJLi1ELi0ELi2EEEESE_Li2ELi16ELi16ELb0ELi0ENSC_IJLi4ELi64ELi1EEEESE_SE_Li2ELi32ELi32ELb0ELi0ELi1ELi1ENSC_IJLi1ELi32ELi1ELi8EEEELi4ELNS_26BlockGemmPipelineSchedulerE0ELNS_24BlockGemmPipelineVersionE2ES5_S5_Lb0ELb0ELi0EE8Run_2LdsIKNS_16TensorDescriptorINS_5TupleIJNS_5EmbedINSM_IJiiEEENSM_IJiNS_17integral_constantIiLi1EEEEEELb0EEENS_7UnMergeISO_Lb0EEENS_11PassThroughIiEEEEENSM_IJNSC_IJLi0EEEENSC_IJLi2EEEENSC_IJLi1EEEEEEENSM_IJNSC_IJLi1ELi2EEEENSC_IJLi3ELi4EEEENSC_IJLi5EEEEEEENSC_IJLi3ELi5ELi4EEEElEEKNSL_INSM_IJNSN_INSM_IJiiiiEEENSM_IJiiiSQ_EEELb0EEEEEENSM_IJSY_EEENSM_IJNSC_IJLi1ELi2ELi3ELi4EEEEEEES1E_lEEKNSL_INSM_IJSS_NS_8RightPadIiiLb0EEES1J_NST_INSM_IJiNSP_IiLi256EEEEEELb0EEES1M_EEENSM_IJSY_S10_SZ_NSC_IJLi3EEEENSC_IJLi4EEEEEEENSM_IJS12_S1O_S1P_NSC_IJLi5ELi6EEEENSC_IJLi7ELi8EEEEEEENSC_IJLi5ELi6ELi7ELi8EEEElEELb1ELNS_25InMemoryDataOperationEnumE1ELNS_10TailNumberE1EEEvPKS5_PKS6_PDF16_PvS24_RKNSJ_7ProblemERKT_RKT0_RKT1_i.a_block_slice_copy_step:
	.long	8                               ; 0x8
	.long	0                               ; 0x0
	;; [unrolled: 1-line block ×3, first 2 shown]
	.size	__const._ZN2ck41GridwiseGemm_xdl_cshuffle_v3_b_preshuffleINS_13tensor_layout4gemm8RowMajorENS2_11ColumnMajorES3_NS_9f8_fnuz_tENS_7pk_i4_tEfDF16_DF16_NS_16tensor_operation12element_wise11PassThroughES9_S9_LNS7_6device18GemmSpecializationE0ELi256ELi256ELi256ELi128ELi16ELi32ELi16ELi16ELi8ELi8ENS_8SequenceIJLi8ELi32ELi1EEEENSC_IJLi1ELi0ELi2EEEESE_Li2ELi16ELi16ELb0ELi0ENSC_IJLi4ELi64ELi1EEEESE_SE_Li2ELi32ELi32ELb0ELi0ELi1ELi1ENSC_IJLi1ELi32ELi1ELi8EEEELi4ELNS_26BlockGemmPipelineSchedulerE0ELNS_24BlockGemmPipelineVersionE2ES5_S5_Lb0ELb0ELi0EE8Run_2LdsIKNS_16TensorDescriptorINS_5TupleIJNS_5EmbedINSM_IJiiEEENSM_IJiNS_17integral_constantIiLi1EEEEEELb0EEENS_7UnMergeISO_Lb0EEENS_11PassThroughIiEEEEENSM_IJNSC_IJLi0EEEENSC_IJLi2EEEENSC_IJLi1EEEEEEENSM_IJNSC_IJLi1ELi2EEEENSC_IJLi3ELi4EEEENSC_IJLi5EEEEEEENSC_IJLi3ELi5ELi4EEEElEEKNSL_INSM_IJNSN_INSM_IJiiiiEEENSM_IJiiiSQ_EEELb0EEEEEENSM_IJSY_EEENSM_IJNSC_IJLi1ELi2ELi3ELi4EEEEEEES1E_lEEKNSL_INSM_IJSS_NS_8RightPadIiiLb0EEES1J_NST_INSM_IJiNSP_IiLi256EEEEEELb0EEES1M_EEENSM_IJSY_S10_SZ_NSC_IJLi3EEEENSC_IJLi4EEEEEEENSM_IJS12_S1O_S1P_NSC_IJLi5ELi6EEEENSC_IJLi7ELi8EEEEEEENSC_IJLi5ELi6ELi7ELi8EEEElEELb1ELNS_25InMemoryDataOperationEnumE1ELNS_10TailNumberE1EEEvPKS5_PKS6_PDF16_PvS24_RKNSJ_7ProblemERKT_RKT0_RKT1_i.a_block_slice_copy_step, 12

	.type	__const._ZN2ck41GridwiseGemm_xdl_cshuffle_v3_b_preshuffleINS_13tensor_layout4gemm8RowMajorENS2_11ColumnMajorES3_NS_9f8_fnuz_tENS_7pk_i4_tEfDF16_DF16_NS_16tensor_operation12element_wise11PassThroughES9_S9_LNS7_6device18GemmSpecializationE0ELi256ELi256ELi256ELi128ELi16ELi32ELi16ELi16ELi8ELi8ENS_8SequenceIJLi8ELi32ELi1EEEENSC_IJLi1ELi0ELi2EEEESE_Li2ELi16ELi16ELb0ELi0ENSC_IJLi4ELi64ELi1EEEESE_SE_Li2ELi32ELi32ELb0ELi0ELi1ELi1ENSC_IJLi1ELi32ELi1ELi8EEEELi4ELNS_26BlockGemmPipelineSchedulerE0ELNS_24BlockGemmPipelineVersionE2ES5_S5_Lb0ELb0ELi0EE8Run_2LdsIKNS_16TensorDescriptorINS_5TupleIJNS_5EmbedINSM_IJiiEEENSM_IJiNS_17integral_constantIiLi1EEEEEELb0EEENS_7UnMergeISO_Lb0EEENS_11PassThroughIiEEEEENSM_IJNSC_IJLi0EEEENSC_IJLi2EEEENSC_IJLi1EEEEEEENSM_IJNSC_IJLi1ELi2EEEENSC_IJLi3ELi4EEEENSC_IJLi5EEEEEEENSC_IJLi3ELi5ELi4EEEElEEKNSL_INSM_IJNSN_INSM_IJiiiiEEENSM_IJiiiSQ_EEELb0EEEEEENSM_IJSY_EEENSM_IJNSC_IJLi1ELi2ELi3ELi4EEEEEEES1E_lEEKNSL_INSM_IJSS_NS_8RightPadIiiLb0EEES1J_NST_INSM_IJiNSP_IiLi256EEEEEELb0EEES1M_EEENSM_IJSY_S10_SZ_NSC_IJLi3EEEENSC_IJLi4EEEEEEENSM_IJS12_S1O_S1P_NSC_IJLi5ELi6EEEENSC_IJLi7ELi8EEEEEEENSC_IJLi5ELi6ELi7ELi8EEEElEELb1ELNS_25InMemoryDataOperationEnumE1ELNS_10TailNumberE1EEEvPKS5_PKS6_PDF16_PvS24_RKNSJ_7ProblemERKT_RKT0_RKT1_i.b_block_slice_copy_step,@object ; @__const._ZN2ck41GridwiseGemm_xdl_cshuffle_v3_b_preshuffleINS_13tensor_layout4gemm8RowMajorENS2_11ColumnMajorES3_NS_9f8_fnuz_tENS_7pk_i4_tEfDF16_DF16_NS_16tensor_operation12element_wise11PassThroughES9_S9_LNS7_6device18GemmSpecializationE0ELi256ELi256ELi256ELi128ELi16ELi32ELi16ELi16ELi8ELi8ENS_8SequenceIJLi8ELi32ELi1EEEENSC_IJLi1ELi0ELi2EEEESE_Li2ELi16ELi16ELb0ELi0ENSC_IJLi4ELi64ELi1EEEESE_SE_Li2ELi32ELi32ELb0ELi0ELi1ELi1ENSC_IJLi1ELi32ELi1ELi8EEEELi4ELNS_26BlockGemmPipelineSchedulerE0ELNS_24BlockGemmPipelineVersionE2ES5_S5_Lb0ELb0ELi0EE8Run_2LdsIKNS_16TensorDescriptorINS_5TupleIJNS_5EmbedINSM_IJiiEEENSM_IJiNS_17integral_constantIiLi1EEEEEELb0EEENS_7UnMergeISO_Lb0EEENS_11PassThroughIiEEEEENSM_IJNSC_IJLi0EEEENSC_IJLi2EEEENSC_IJLi1EEEEEEENSM_IJNSC_IJLi1ELi2EEEENSC_IJLi3ELi4EEEENSC_IJLi5EEEEEEENSC_IJLi3ELi5ELi4EEEElEEKNSL_INSM_IJNSN_INSM_IJiiiiEEENSM_IJiiiSQ_EEELb0EEEEEENSM_IJSY_EEENSM_IJNSC_IJLi1ELi2ELi3ELi4EEEEEEES1E_lEEKNSL_INSM_IJSS_NS_8RightPadIiiLb0EEES1J_NST_INSM_IJiNSP_IiLi256EEEEEELb0EEES1M_EEENSM_IJSY_S10_SZ_NSC_IJLi3EEEENSC_IJLi4EEEEEEENSM_IJS12_S1O_S1P_NSC_IJLi5ELi6EEEENSC_IJLi7ELi8EEEEEEENSC_IJLi5ELi6ELi7ELi8EEEElEELb1ELNS_25InMemoryDataOperationEnumE1ELNS_10TailNumberE1EEEvPKS5_PKS6_PDF16_PvS24_RKNSJ_7ProblemERKT_RKT0_RKT1_i.b_block_slice_copy_step
	.section	.rodata.cst16,"aM",@progbits,16
	.p2align	2, 0x0
__const._ZN2ck41GridwiseGemm_xdl_cshuffle_v3_b_preshuffleINS_13tensor_layout4gemm8RowMajorENS2_11ColumnMajorES3_NS_9f8_fnuz_tENS_7pk_i4_tEfDF16_DF16_NS_16tensor_operation12element_wise11PassThroughES9_S9_LNS7_6device18GemmSpecializationE0ELi256ELi256ELi256ELi128ELi16ELi32ELi16ELi16ELi8ELi8ENS_8SequenceIJLi8ELi32ELi1EEEENSC_IJLi1ELi0ELi2EEEESE_Li2ELi16ELi16ELb0ELi0ENSC_IJLi4ELi64ELi1EEEESE_SE_Li2ELi32ELi32ELb0ELi0ELi1ELi1ENSC_IJLi1ELi32ELi1ELi8EEEELi4ELNS_26BlockGemmPipelineSchedulerE0ELNS_24BlockGemmPipelineVersionE2ES5_S5_Lb0ELb0ELi0EE8Run_2LdsIKNS_16TensorDescriptorINS_5TupleIJNS_5EmbedINSM_IJiiEEENSM_IJiNS_17integral_constantIiLi1EEEEEELb0EEENS_7UnMergeISO_Lb0EEENS_11PassThroughIiEEEEENSM_IJNSC_IJLi0EEEENSC_IJLi2EEEENSC_IJLi1EEEEEEENSM_IJNSC_IJLi1ELi2EEEENSC_IJLi3ELi4EEEENSC_IJLi5EEEEEEENSC_IJLi3ELi5ELi4EEEElEEKNSL_INSM_IJNSN_INSM_IJiiiiEEENSM_IJiiiSQ_EEELb0EEEEEENSM_IJSY_EEENSM_IJNSC_IJLi1ELi2ELi3ELi4EEEEEEES1E_lEEKNSL_INSM_IJSS_NS_8RightPadIiiLb0EEES1J_NST_INSM_IJiNSP_IiLi256EEEEEELb0EEES1M_EEENSM_IJSY_S10_SZ_NSC_IJLi3EEEENSC_IJLi4EEEEEEENSM_IJS12_S1O_S1P_NSC_IJLi5ELi6EEEENSC_IJLi7ELi8EEEEEEENSC_IJLi5ELi6ELi7ELi8EEEElEELb1ELNS_25InMemoryDataOperationEnumE1ELNS_10TailNumberE1EEEvPKS5_PKS6_PDF16_PvS24_RKNSJ_7ProblemERKT_RKT0_RKT1_i.b_block_slice_copy_step:
	.long	0                               ; 0x0
	.long	0                               ; 0x0
	;; [unrolled: 1-line block ×4, first 2 shown]
	.size	__const._ZN2ck41GridwiseGemm_xdl_cshuffle_v3_b_preshuffleINS_13tensor_layout4gemm8RowMajorENS2_11ColumnMajorES3_NS_9f8_fnuz_tENS_7pk_i4_tEfDF16_DF16_NS_16tensor_operation12element_wise11PassThroughES9_S9_LNS7_6device18GemmSpecializationE0ELi256ELi256ELi256ELi128ELi16ELi32ELi16ELi16ELi8ELi8ENS_8SequenceIJLi8ELi32ELi1EEEENSC_IJLi1ELi0ELi2EEEESE_Li2ELi16ELi16ELb0ELi0ENSC_IJLi4ELi64ELi1EEEESE_SE_Li2ELi32ELi32ELb0ELi0ELi1ELi1ENSC_IJLi1ELi32ELi1ELi8EEEELi4ELNS_26BlockGemmPipelineSchedulerE0ELNS_24BlockGemmPipelineVersionE2ES5_S5_Lb0ELb0ELi0EE8Run_2LdsIKNS_16TensorDescriptorINS_5TupleIJNS_5EmbedINSM_IJiiEEENSM_IJiNS_17integral_constantIiLi1EEEEEELb0EEENS_7UnMergeISO_Lb0EEENS_11PassThroughIiEEEEENSM_IJNSC_IJLi0EEEENSC_IJLi2EEEENSC_IJLi1EEEEEEENSM_IJNSC_IJLi1ELi2EEEENSC_IJLi3ELi4EEEENSC_IJLi5EEEEEEENSC_IJLi3ELi5ELi4EEEElEEKNSL_INSM_IJNSN_INSM_IJiiiiEEENSM_IJiiiSQ_EEELb0EEEEEENSM_IJSY_EEENSM_IJNSC_IJLi1ELi2ELi3ELi4EEEEEEES1E_lEEKNSL_INSM_IJSS_NS_8RightPadIiiLb0EEES1J_NST_INSM_IJiNSP_IiLi256EEEEEELb0EEES1M_EEENSM_IJSY_S10_SZ_NSC_IJLi3EEEENSC_IJLi4EEEEEEENSM_IJS12_S1O_S1P_NSC_IJLi5ELi6EEEENSC_IJLi7ELi8EEEEEEENSC_IJLi5ELi6ELi7ELi8EEEElEELb1ELNS_25InMemoryDataOperationEnumE1ELNS_10TailNumberE1EEEvPKS5_PKS6_PDF16_PvS24_RKNSJ_7ProblemERKT_RKT0_RKT1_i.b_block_slice_copy_step, 16

	.type	__const._ZN2ck41GridwiseGemm_xdl_cshuffle_v3_b_preshuffleINS_13tensor_layout4gemm8RowMajorENS2_11ColumnMajorES3_NS_9f8_fnuz_tENS_7pk_i4_tEfDF16_DF16_NS_16tensor_operation12element_wise11PassThroughES9_S9_LNS7_6device18GemmSpecializationE0ELi256ELi256ELi256ELi128ELi16ELi32ELi16ELi16ELi8ELi8ENS_8SequenceIJLi8ELi32ELi1EEEENSC_IJLi1ELi0ELi2EEEESE_Li2ELi16ELi16ELb0ELi0ENSC_IJLi4ELi64ELi1EEEESE_SE_Li2ELi32ELi32ELb0ELi0ELi1ELi1ENSC_IJLi1ELi32ELi1ELi8EEEELi4ELNS_26BlockGemmPipelineSchedulerE0ELNS_24BlockGemmPipelineVersionE2ES5_S5_Lb0ELb0ELi0EE8Run_2LdsIKNS_16TensorDescriptorINS_5TupleIJNS_5EmbedINSM_IJiiEEENSM_IJiNS_17integral_constantIiLi1EEEEEELb0EEENS_7UnMergeISO_Lb0EEENS_11PassThroughIiEEEEENSM_IJNSC_IJLi0EEEENSC_IJLi2EEEENSC_IJLi1EEEEEEENSM_IJNSC_IJLi1ELi2EEEENSC_IJLi3ELi4EEEENSC_IJLi5EEEEEEENSC_IJLi3ELi5ELi4EEEElEEKNSL_INSM_IJNSN_INSM_IJiiiiEEENSM_IJiiiSQ_EEELb0EEEEEENSM_IJSY_EEENSM_IJNSC_IJLi1ELi2ELi3ELi4EEEEEEES1E_lEEKNSL_INSM_IJSS_NS_8RightPadIiiLb0EEES1J_NST_INSM_IJiNSP_IiLi256EEEEEELb0EEES1M_EEENSM_IJSY_S10_SZ_NSC_IJLi3EEEENSC_IJLi4EEEEEEENSM_IJS12_S1O_S1P_NSC_IJLi5ELi6EEEENSC_IJLi7ELi8EEEEEEENSC_IJLi5ELi6ELi7ELi8EEEElEELb1ELNS_25InMemoryDataOperationEnumE0ELNS_10TailNumberE0EEEvPKS5_PKS6_PDF16_PvS24_RKNSJ_7ProblemERKT_RKT0_RKT1_i.a_block_slice_copy_step,@object ; @__const._ZN2ck41GridwiseGemm_xdl_cshuffle_v3_b_preshuffleINS_13tensor_layout4gemm8RowMajorENS2_11ColumnMajorES3_NS_9f8_fnuz_tENS_7pk_i4_tEfDF16_DF16_NS_16tensor_operation12element_wise11PassThroughES9_S9_LNS7_6device18GemmSpecializationE0ELi256ELi256ELi256ELi128ELi16ELi32ELi16ELi16ELi8ELi8ENS_8SequenceIJLi8ELi32ELi1EEEENSC_IJLi1ELi0ELi2EEEESE_Li2ELi16ELi16ELb0ELi0ENSC_IJLi4ELi64ELi1EEEESE_SE_Li2ELi32ELi32ELb0ELi0ELi1ELi1ENSC_IJLi1ELi32ELi1ELi8EEEELi4ELNS_26BlockGemmPipelineSchedulerE0ELNS_24BlockGemmPipelineVersionE2ES5_S5_Lb0ELb0ELi0EE8Run_2LdsIKNS_16TensorDescriptorINS_5TupleIJNS_5EmbedINSM_IJiiEEENSM_IJiNS_17integral_constantIiLi1EEEEEELb0EEENS_7UnMergeISO_Lb0EEENS_11PassThroughIiEEEEENSM_IJNSC_IJLi0EEEENSC_IJLi2EEEENSC_IJLi1EEEEEEENSM_IJNSC_IJLi1ELi2EEEENSC_IJLi3ELi4EEEENSC_IJLi5EEEEEEENSC_IJLi3ELi5ELi4EEEElEEKNSL_INSM_IJNSN_INSM_IJiiiiEEENSM_IJiiiSQ_EEELb0EEEEEENSM_IJSY_EEENSM_IJNSC_IJLi1ELi2ELi3ELi4EEEEEEES1E_lEEKNSL_INSM_IJSS_NS_8RightPadIiiLb0EEES1J_NST_INSM_IJiNSP_IiLi256EEEEEELb0EEES1M_EEENSM_IJSY_S10_SZ_NSC_IJLi3EEEENSC_IJLi4EEEEEEENSM_IJS12_S1O_S1P_NSC_IJLi5ELi6EEEENSC_IJLi7ELi8EEEEEEENSC_IJLi5ELi6ELi7ELi8EEEElEELb1ELNS_25InMemoryDataOperationEnumE0ELNS_10TailNumberE0EEEvPKS5_PKS6_PDF16_PvS24_RKNSJ_7ProblemERKT_RKT0_RKT1_i.a_block_slice_copy_step
	.section	.rodata,"a",@progbits
	.p2align	2, 0x0
__const._ZN2ck41GridwiseGemm_xdl_cshuffle_v3_b_preshuffleINS_13tensor_layout4gemm8RowMajorENS2_11ColumnMajorES3_NS_9f8_fnuz_tENS_7pk_i4_tEfDF16_DF16_NS_16tensor_operation12element_wise11PassThroughES9_S9_LNS7_6device18GemmSpecializationE0ELi256ELi256ELi256ELi128ELi16ELi32ELi16ELi16ELi8ELi8ENS_8SequenceIJLi8ELi32ELi1EEEENSC_IJLi1ELi0ELi2EEEESE_Li2ELi16ELi16ELb0ELi0ENSC_IJLi4ELi64ELi1EEEESE_SE_Li2ELi32ELi32ELb0ELi0ELi1ELi1ENSC_IJLi1ELi32ELi1ELi8EEEELi4ELNS_26BlockGemmPipelineSchedulerE0ELNS_24BlockGemmPipelineVersionE2ES5_S5_Lb0ELb0ELi0EE8Run_2LdsIKNS_16TensorDescriptorINS_5TupleIJNS_5EmbedINSM_IJiiEEENSM_IJiNS_17integral_constantIiLi1EEEEEELb0EEENS_7UnMergeISO_Lb0EEENS_11PassThroughIiEEEEENSM_IJNSC_IJLi0EEEENSC_IJLi2EEEENSC_IJLi1EEEEEEENSM_IJNSC_IJLi1ELi2EEEENSC_IJLi3ELi4EEEENSC_IJLi5EEEEEEENSC_IJLi3ELi5ELi4EEEElEEKNSL_INSM_IJNSN_INSM_IJiiiiEEENSM_IJiiiSQ_EEELb0EEEEEENSM_IJSY_EEENSM_IJNSC_IJLi1ELi2ELi3ELi4EEEEEEES1E_lEEKNSL_INSM_IJSS_NS_8RightPadIiiLb0EEES1J_NST_INSM_IJiNSP_IiLi256EEEEEELb0EEES1M_EEENSM_IJSY_S10_SZ_NSC_IJLi3EEEENSC_IJLi4EEEEEEENSM_IJS12_S1O_S1P_NSC_IJLi5ELi6EEEENSC_IJLi7ELi8EEEEEEENSC_IJLi5ELi6ELi7ELi8EEEElEELb1ELNS_25InMemoryDataOperationEnumE0ELNS_10TailNumberE0EEEvPKS5_PKS6_PDF16_PvS24_RKNSJ_7ProblemERKT_RKT0_RKT1_i.a_block_slice_copy_step:
	.long	8                               ; 0x8
	.long	0                               ; 0x0
	;; [unrolled: 1-line block ×3, first 2 shown]
	.size	__const._ZN2ck41GridwiseGemm_xdl_cshuffle_v3_b_preshuffleINS_13tensor_layout4gemm8RowMajorENS2_11ColumnMajorES3_NS_9f8_fnuz_tENS_7pk_i4_tEfDF16_DF16_NS_16tensor_operation12element_wise11PassThroughES9_S9_LNS7_6device18GemmSpecializationE0ELi256ELi256ELi256ELi128ELi16ELi32ELi16ELi16ELi8ELi8ENS_8SequenceIJLi8ELi32ELi1EEEENSC_IJLi1ELi0ELi2EEEESE_Li2ELi16ELi16ELb0ELi0ENSC_IJLi4ELi64ELi1EEEESE_SE_Li2ELi32ELi32ELb0ELi0ELi1ELi1ENSC_IJLi1ELi32ELi1ELi8EEEELi4ELNS_26BlockGemmPipelineSchedulerE0ELNS_24BlockGemmPipelineVersionE2ES5_S5_Lb0ELb0ELi0EE8Run_2LdsIKNS_16TensorDescriptorINS_5TupleIJNS_5EmbedINSM_IJiiEEENSM_IJiNS_17integral_constantIiLi1EEEEEELb0EEENS_7UnMergeISO_Lb0EEENS_11PassThroughIiEEEEENSM_IJNSC_IJLi0EEEENSC_IJLi2EEEENSC_IJLi1EEEEEEENSM_IJNSC_IJLi1ELi2EEEENSC_IJLi3ELi4EEEENSC_IJLi5EEEEEEENSC_IJLi3ELi5ELi4EEEElEEKNSL_INSM_IJNSN_INSM_IJiiiiEEENSM_IJiiiSQ_EEELb0EEEEEENSM_IJSY_EEENSM_IJNSC_IJLi1ELi2ELi3ELi4EEEEEEES1E_lEEKNSL_INSM_IJSS_NS_8RightPadIiiLb0EEES1J_NST_INSM_IJiNSP_IiLi256EEEEEELb0EEES1M_EEENSM_IJSY_S10_SZ_NSC_IJLi3EEEENSC_IJLi4EEEEEEENSM_IJS12_S1O_S1P_NSC_IJLi5ELi6EEEENSC_IJLi7ELi8EEEEEEENSC_IJLi5ELi6ELi7ELi8EEEElEELb1ELNS_25InMemoryDataOperationEnumE0ELNS_10TailNumberE0EEEvPKS5_PKS6_PDF16_PvS24_RKNSJ_7ProblemERKT_RKT0_RKT1_i.a_block_slice_copy_step, 12

	.type	__const._ZN2ck41GridwiseGemm_xdl_cshuffle_v3_b_preshuffleINS_13tensor_layout4gemm8RowMajorENS2_11ColumnMajorES3_NS_9f8_fnuz_tENS_7pk_i4_tEfDF16_DF16_NS_16tensor_operation12element_wise11PassThroughES9_S9_LNS7_6device18GemmSpecializationE0ELi256ELi256ELi256ELi128ELi16ELi32ELi16ELi16ELi8ELi8ENS_8SequenceIJLi8ELi32ELi1EEEENSC_IJLi1ELi0ELi2EEEESE_Li2ELi16ELi16ELb0ELi0ENSC_IJLi4ELi64ELi1EEEESE_SE_Li2ELi32ELi32ELb0ELi0ELi1ELi1ENSC_IJLi1ELi32ELi1ELi8EEEELi4ELNS_26BlockGemmPipelineSchedulerE0ELNS_24BlockGemmPipelineVersionE2ES5_S5_Lb0ELb0ELi0EE8Run_2LdsIKNS_16TensorDescriptorINS_5TupleIJNS_5EmbedINSM_IJiiEEENSM_IJiNS_17integral_constantIiLi1EEEEEELb0EEENS_7UnMergeISO_Lb0EEENS_11PassThroughIiEEEEENSM_IJNSC_IJLi0EEEENSC_IJLi2EEEENSC_IJLi1EEEEEEENSM_IJNSC_IJLi1ELi2EEEENSC_IJLi3ELi4EEEENSC_IJLi5EEEEEEENSC_IJLi3ELi5ELi4EEEElEEKNSL_INSM_IJNSN_INSM_IJiiiiEEENSM_IJiiiSQ_EEELb0EEEEEENSM_IJSY_EEENSM_IJNSC_IJLi1ELi2ELi3ELi4EEEEEEES1E_lEEKNSL_INSM_IJSS_NS_8RightPadIiiLb0EEES1J_NST_INSM_IJiNSP_IiLi256EEEEEELb0EEES1M_EEENSM_IJSY_S10_SZ_NSC_IJLi3EEEENSC_IJLi4EEEEEEENSM_IJS12_S1O_S1P_NSC_IJLi5ELi6EEEENSC_IJLi7ELi8EEEEEEENSC_IJLi5ELi6ELi7ELi8EEEElEELb1ELNS_25InMemoryDataOperationEnumE0ELNS_10TailNumberE0EEEvPKS5_PKS6_PDF16_PvS24_RKNSJ_7ProblemERKT_RKT0_RKT1_i.b_block_slice_copy_step,@object ; @__const._ZN2ck41GridwiseGemm_xdl_cshuffle_v3_b_preshuffleINS_13tensor_layout4gemm8RowMajorENS2_11ColumnMajorES3_NS_9f8_fnuz_tENS_7pk_i4_tEfDF16_DF16_NS_16tensor_operation12element_wise11PassThroughES9_S9_LNS7_6device18GemmSpecializationE0ELi256ELi256ELi256ELi128ELi16ELi32ELi16ELi16ELi8ELi8ENS_8SequenceIJLi8ELi32ELi1EEEENSC_IJLi1ELi0ELi2EEEESE_Li2ELi16ELi16ELb0ELi0ENSC_IJLi4ELi64ELi1EEEESE_SE_Li2ELi32ELi32ELb0ELi0ELi1ELi1ENSC_IJLi1ELi32ELi1ELi8EEEELi4ELNS_26BlockGemmPipelineSchedulerE0ELNS_24BlockGemmPipelineVersionE2ES5_S5_Lb0ELb0ELi0EE8Run_2LdsIKNS_16TensorDescriptorINS_5TupleIJNS_5EmbedINSM_IJiiEEENSM_IJiNS_17integral_constantIiLi1EEEEEELb0EEENS_7UnMergeISO_Lb0EEENS_11PassThroughIiEEEEENSM_IJNSC_IJLi0EEEENSC_IJLi2EEEENSC_IJLi1EEEEEEENSM_IJNSC_IJLi1ELi2EEEENSC_IJLi3ELi4EEEENSC_IJLi5EEEEEEENSC_IJLi3ELi5ELi4EEEElEEKNSL_INSM_IJNSN_INSM_IJiiiiEEENSM_IJiiiSQ_EEELb0EEEEEENSM_IJSY_EEENSM_IJNSC_IJLi1ELi2ELi3ELi4EEEEEEES1E_lEEKNSL_INSM_IJSS_NS_8RightPadIiiLb0EEES1J_NST_INSM_IJiNSP_IiLi256EEEEEELb0EEES1M_EEENSM_IJSY_S10_SZ_NSC_IJLi3EEEENSC_IJLi4EEEEEEENSM_IJS12_S1O_S1P_NSC_IJLi5ELi6EEEENSC_IJLi7ELi8EEEEEEENSC_IJLi5ELi6ELi7ELi8EEEElEELb1ELNS_25InMemoryDataOperationEnumE0ELNS_10TailNumberE0EEEvPKS5_PKS6_PDF16_PvS24_RKNSJ_7ProblemERKT_RKT0_RKT1_i.b_block_slice_copy_step
	.section	.rodata.cst16,"aM",@progbits,16
	.p2align	2, 0x0
__const._ZN2ck41GridwiseGemm_xdl_cshuffle_v3_b_preshuffleINS_13tensor_layout4gemm8RowMajorENS2_11ColumnMajorES3_NS_9f8_fnuz_tENS_7pk_i4_tEfDF16_DF16_NS_16tensor_operation12element_wise11PassThroughES9_S9_LNS7_6device18GemmSpecializationE0ELi256ELi256ELi256ELi128ELi16ELi32ELi16ELi16ELi8ELi8ENS_8SequenceIJLi8ELi32ELi1EEEENSC_IJLi1ELi0ELi2EEEESE_Li2ELi16ELi16ELb0ELi0ENSC_IJLi4ELi64ELi1EEEESE_SE_Li2ELi32ELi32ELb0ELi0ELi1ELi1ENSC_IJLi1ELi32ELi1ELi8EEEELi4ELNS_26BlockGemmPipelineSchedulerE0ELNS_24BlockGemmPipelineVersionE2ES5_S5_Lb0ELb0ELi0EE8Run_2LdsIKNS_16TensorDescriptorINS_5TupleIJNS_5EmbedINSM_IJiiEEENSM_IJiNS_17integral_constantIiLi1EEEEEELb0EEENS_7UnMergeISO_Lb0EEENS_11PassThroughIiEEEEENSM_IJNSC_IJLi0EEEENSC_IJLi2EEEENSC_IJLi1EEEEEEENSM_IJNSC_IJLi1ELi2EEEENSC_IJLi3ELi4EEEENSC_IJLi5EEEEEEENSC_IJLi3ELi5ELi4EEEElEEKNSL_INSM_IJNSN_INSM_IJiiiiEEENSM_IJiiiSQ_EEELb0EEEEEENSM_IJSY_EEENSM_IJNSC_IJLi1ELi2ELi3ELi4EEEEEEES1E_lEEKNSL_INSM_IJSS_NS_8RightPadIiiLb0EEES1J_NST_INSM_IJiNSP_IiLi256EEEEEELb0EEES1M_EEENSM_IJSY_S10_SZ_NSC_IJLi3EEEENSC_IJLi4EEEEEEENSM_IJS12_S1O_S1P_NSC_IJLi5ELi6EEEENSC_IJLi7ELi8EEEEEEENSC_IJLi5ELi6ELi7ELi8EEEElEELb1ELNS_25InMemoryDataOperationEnumE0ELNS_10TailNumberE0EEEvPKS5_PKS6_PDF16_PvS24_RKNSJ_7ProblemERKT_RKT0_RKT1_i.b_block_slice_copy_step:
	.long	0                               ; 0x0
	.long	0                               ; 0x0
	;; [unrolled: 1-line block ×4, first 2 shown]
	.size	__const._ZN2ck41GridwiseGemm_xdl_cshuffle_v3_b_preshuffleINS_13tensor_layout4gemm8RowMajorENS2_11ColumnMajorES3_NS_9f8_fnuz_tENS_7pk_i4_tEfDF16_DF16_NS_16tensor_operation12element_wise11PassThroughES9_S9_LNS7_6device18GemmSpecializationE0ELi256ELi256ELi256ELi128ELi16ELi32ELi16ELi16ELi8ELi8ENS_8SequenceIJLi8ELi32ELi1EEEENSC_IJLi1ELi0ELi2EEEESE_Li2ELi16ELi16ELb0ELi0ENSC_IJLi4ELi64ELi1EEEESE_SE_Li2ELi32ELi32ELb0ELi0ELi1ELi1ENSC_IJLi1ELi32ELi1ELi8EEEELi4ELNS_26BlockGemmPipelineSchedulerE0ELNS_24BlockGemmPipelineVersionE2ES5_S5_Lb0ELb0ELi0EE8Run_2LdsIKNS_16TensorDescriptorINS_5TupleIJNS_5EmbedINSM_IJiiEEENSM_IJiNS_17integral_constantIiLi1EEEEEELb0EEENS_7UnMergeISO_Lb0EEENS_11PassThroughIiEEEEENSM_IJNSC_IJLi0EEEENSC_IJLi2EEEENSC_IJLi1EEEEEEENSM_IJNSC_IJLi1ELi2EEEENSC_IJLi3ELi4EEEENSC_IJLi5EEEEEEENSC_IJLi3ELi5ELi4EEEElEEKNSL_INSM_IJNSN_INSM_IJiiiiEEENSM_IJiiiSQ_EEELb0EEEEEENSM_IJSY_EEENSM_IJNSC_IJLi1ELi2ELi3ELi4EEEEEEES1E_lEEKNSL_INSM_IJSS_NS_8RightPadIiiLb0EEES1J_NST_INSM_IJiNSP_IiLi256EEEEEELb0EEES1M_EEENSM_IJSY_S10_SZ_NSC_IJLi3EEEENSC_IJLi4EEEEEEENSM_IJS12_S1O_S1P_NSC_IJLi5ELi6EEEENSC_IJLi7ELi8EEEEEEENSC_IJLi5ELi6ELi7ELi8EEEElEELb1ELNS_25InMemoryDataOperationEnumE0ELNS_10TailNumberE0EEEvPKS5_PKS6_PDF16_PvS24_RKNSJ_7ProblemERKT_RKT0_RKT1_i.b_block_slice_copy_step, 16

	.type	__const._ZN2ck41GridwiseGemm_xdl_cshuffle_v3_b_preshuffleINS_13tensor_layout4gemm8RowMajorENS2_11ColumnMajorES3_NS_9f8_fnuz_tENS_7pk_i4_tEfDF16_DF16_NS_16tensor_operation12element_wise11PassThroughES9_S9_LNS7_6device18GemmSpecializationE0ELi256ELi256ELi256ELi128ELi16ELi32ELi16ELi16ELi8ELi8ENS_8SequenceIJLi8ELi32ELi1EEEENSC_IJLi1ELi0ELi2EEEESE_Li2ELi16ELi16ELb0ELi0ENSC_IJLi4ELi64ELi1EEEESE_SE_Li2ELi32ELi32ELb0ELi0ELi1ELi1ENSC_IJLi1ELi32ELi1ELi8EEEELi4ELNS_26BlockGemmPipelineSchedulerE0ELNS_24BlockGemmPipelineVersionE2ES5_S5_Lb0ELb0ELi0EE8Run_2LdsIKNS_16TensorDescriptorINS_5TupleIJNS_5EmbedINSM_IJiiEEENSM_IJiNS_17integral_constantIiLi1EEEEEELb0EEENS_7UnMergeISO_Lb0EEENS_11PassThroughIiEEEEENSM_IJNSC_IJLi0EEEENSC_IJLi2EEEENSC_IJLi1EEEEEEENSM_IJNSC_IJLi1ELi2EEEENSC_IJLi3ELi4EEEENSC_IJLi5EEEEEEENSC_IJLi3ELi5ELi4EEEElEEKNSL_INSM_IJNSN_INSM_IJiiiiEEENSM_IJiiiSQ_EEELb0EEEEEENSM_IJSY_EEENSM_IJNSC_IJLi1ELi2ELi3ELi4EEEEEEES1E_lEEKNSL_INSM_IJSS_NS_8RightPadIiiLb0EEES1J_NST_INSM_IJiNSP_IiLi256EEEEEELb0EEES1M_EEENSM_IJSY_S10_SZ_NSC_IJLi3EEEENSC_IJLi4EEEEEEENSM_IJS12_S1O_S1P_NSC_IJLi5ELi6EEEENSC_IJLi7ELi8EEEEEEENSC_IJLi5ELi6ELi7ELi8EEEElEELb1ELNS_25InMemoryDataOperationEnumE0ELNS_10TailNumberE1EEEvPKS5_PKS6_PDF16_PvS24_RKNSJ_7ProblemERKT_RKT0_RKT1_i.a_block_slice_copy_step,@object ; @__const._ZN2ck41GridwiseGemm_xdl_cshuffle_v3_b_preshuffleINS_13tensor_layout4gemm8RowMajorENS2_11ColumnMajorES3_NS_9f8_fnuz_tENS_7pk_i4_tEfDF16_DF16_NS_16tensor_operation12element_wise11PassThroughES9_S9_LNS7_6device18GemmSpecializationE0ELi256ELi256ELi256ELi128ELi16ELi32ELi16ELi16ELi8ELi8ENS_8SequenceIJLi8ELi32ELi1EEEENSC_IJLi1ELi0ELi2EEEESE_Li2ELi16ELi16ELb0ELi0ENSC_IJLi4ELi64ELi1EEEESE_SE_Li2ELi32ELi32ELb0ELi0ELi1ELi1ENSC_IJLi1ELi32ELi1ELi8EEEELi4ELNS_26BlockGemmPipelineSchedulerE0ELNS_24BlockGemmPipelineVersionE2ES5_S5_Lb0ELb0ELi0EE8Run_2LdsIKNS_16TensorDescriptorINS_5TupleIJNS_5EmbedINSM_IJiiEEENSM_IJiNS_17integral_constantIiLi1EEEEEELb0EEENS_7UnMergeISO_Lb0EEENS_11PassThroughIiEEEEENSM_IJNSC_IJLi0EEEENSC_IJLi2EEEENSC_IJLi1EEEEEEENSM_IJNSC_IJLi1ELi2EEEENSC_IJLi3ELi4EEEENSC_IJLi5EEEEEEENSC_IJLi3ELi5ELi4EEEElEEKNSL_INSM_IJNSN_INSM_IJiiiiEEENSM_IJiiiSQ_EEELb0EEEEEENSM_IJSY_EEENSM_IJNSC_IJLi1ELi2ELi3ELi4EEEEEEES1E_lEEKNSL_INSM_IJSS_NS_8RightPadIiiLb0EEES1J_NST_INSM_IJiNSP_IiLi256EEEEEELb0EEES1M_EEENSM_IJSY_S10_SZ_NSC_IJLi3EEEENSC_IJLi4EEEEEEENSM_IJS12_S1O_S1P_NSC_IJLi5ELi6EEEENSC_IJLi7ELi8EEEEEEENSC_IJLi5ELi6ELi7ELi8EEEElEELb1ELNS_25InMemoryDataOperationEnumE0ELNS_10TailNumberE1EEEvPKS5_PKS6_PDF16_PvS24_RKNSJ_7ProblemERKT_RKT0_RKT1_i.a_block_slice_copy_step
	.section	.rodata,"a",@progbits
	.p2align	2, 0x0
__const._ZN2ck41GridwiseGemm_xdl_cshuffle_v3_b_preshuffleINS_13tensor_layout4gemm8RowMajorENS2_11ColumnMajorES3_NS_9f8_fnuz_tENS_7pk_i4_tEfDF16_DF16_NS_16tensor_operation12element_wise11PassThroughES9_S9_LNS7_6device18GemmSpecializationE0ELi256ELi256ELi256ELi128ELi16ELi32ELi16ELi16ELi8ELi8ENS_8SequenceIJLi8ELi32ELi1EEEENSC_IJLi1ELi0ELi2EEEESE_Li2ELi16ELi16ELb0ELi0ENSC_IJLi4ELi64ELi1EEEESE_SE_Li2ELi32ELi32ELb0ELi0ELi1ELi1ENSC_IJLi1ELi32ELi1ELi8EEEELi4ELNS_26BlockGemmPipelineSchedulerE0ELNS_24BlockGemmPipelineVersionE2ES5_S5_Lb0ELb0ELi0EE8Run_2LdsIKNS_16TensorDescriptorINS_5TupleIJNS_5EmbedINSM_IJiiEEENSM_IJiNS_17integral_constantIiLi1EEEEEELb0EEENS_7UnMergeISO_Lb0EEENS_11PassThroughIiEEEEENSM_IJNSC_IJLi0EEEENSC_IJLi2EEEENSC_IJLi1EEEEEEENSM_IJNSC_IJLi1ELi2EEEENSC_IJLi3ELi4EEEENSC_IJLi5EEEEEEENSC_IJLi3ELi5ELi4EEEElEEKNSL_INSM_IJNSN_INSM_IJiiiiEEENSM_IJiiiSQ_EEELb0EEEEEENSM_IJSY_EEENSM_IJNSC_IJLi1ELi2ELi3ELi4EEEEEEES1E_lEEKNSL_INSM_IJSS_NS_8RightPadIiiLb0EEES1J_NST_INSM_IJiNSP_IiLi256EEEEEELb0EEES1M_EEENSM_IJSY_S10_SZ_NSC_IJLi3EEEENSC_IJLi4EEEEEEENSM_IJS12_S1O_S1P_NSC_IJLi5ELi6EEEENSC_IJLi7ELi8EEEEEEENSC_IJLi5ELi6ELi7ELi8EEEElEELb1ELNS_25InMemoryDataOperationEnumE0ELNS_10TailNumberE1EEEvPKS5_PKS6_PDF16_PvS24_RKNSJ_7ProblemERKT_RKT0_RKT1_i.a_block_slice_copy_step:
	.long	8                               ; 0x8
	.long	0                               ; 0x0
	;; [unrolled: 1-line block ×3, first 2 shown]
	.size	__const._ZN2ck41GridwiseGemm_xdl_cshuffle_v3_b_preshuffleINS_13tensor_layout4gemm8RowMajorENS2_11ColumnMajorES3_NS_9f8_fnuz_tENS_7pk_i4_tEfDF16_DF16_NS_16tensor_operation12element_wise11PassThroughES9_S9_LNS7_6device18GemmSpecializationE0ELi256ELi256ELi256ELi128ELi16ELi32ELi16ELi16ELi8ELi8ENS_8SequenceIJLi8ELi32ELi1EEEENSC_IJLi1ELi0ELi2EEEESE_Li2ELi16ELi16ELb0ELi0ENSC_IJLi4ELi64ELi1EEEESE_SE_Li2ELi32ELi32ELb0ELi0ELi1ELi1ENSC_IJLi1ELi32ELi1ELi8EEEELi4ELNS_26BlockGemmPipelineSchedulerE0ELNS_24BlockGemmPipelineVersionE2ES5_S5_Lb0ELb0ELi0EE8Run_2LdsIKNS_16TensorDescriptorINS_5TupleIJNS_5EmbedINSM_IJiiEEENSM_IJiNS_17integral_constantIiLi1EEEEEELb0EEENS_7UnMergeISO_Lb0EEENS_11PassThroughIiEEEEENSM_IJNSC_IJLi0EEEENSC_IJLi2EEEENSC_IJLi1EEEEEEENSM_IJNSC_IJLi1ELi2EEEENSC_IJLi3ELi4EEEENSC_IJLi5EEEEEEENSC_IJLi3ELi5ELi4EEEElEEKNSL_INSM_IJNSN_INSM_IJiiiiEEENSM_IJiiiSQ_EEELb0EEEEEENSM_IJSY_EEENSM_IJNSC_IJLi1ELi2ELi3ELi4EEEEEEES1E_lEEKNSL_INSM_IJSS_NS_8RightPadIiiLb0EEES1J_NST_INSM_IJiNSP_IiLi256EEEEEELb0EEES1M_EEENSM_IJSY_S10_SZ_NSC_IJLi3EEEENSC_IJLi4EEEEEEENSM_IJS12_S1O_S1P_NSC_IJLi5ELi6EEEENSC_IJLi7ELi8EEEEEEENSC_IJLi5ELi6ELi7ELi8EEEElEELb1ELNS_25InMemoryDataOperationEnumE0ELNS_10TailNumberE1EEEvPKS5_PKS6_PDF16_PvS24_RKNSJ_7ProblemERKT_RKT0_RKT1_i.a_block_slice_copy_step, 12

	.type	__const._ZN2ck41GridwiseGemm_xdl_cshuffle_v3_b_preshuffleINS_13tensor_layout4gemm8RowMajorENS2_11ColumnMajorES3_NS_9f8_fnuz_tENS_7pk_i4_tEfDF16_DF16_NS_16tensor_operation12element_wise11PassThroughES9_S9_LNS7_6device18GemmSpecializationE0ELi256ELi256ELi256ELi128ELi16ELi32ELi16ELi16ELi8ELi8ENS_8SequenceIJLi8ELi32ELi1EEEENSC_IJLi1ELi0ELi2EEEESE_Li2ELi16ELi16ELb0ELi0ENSC_IJLi4ELi64ELi1EEEESE_SE_Li2ELi32ELi32ELb0ELi0ELi1ELi1ENSC_IJLi1ELi32ELi1ELi8EEEELi4ELNS_26BlockGemmPipelineSchedulerE0ELNS_24BlockGemmPipelineVersionE2ES5_S5_Lb0ELb0ELi0EE8Run_2LdsIKNS_16TensorDescriptorINS_5TupleIJNS_5EmbedINSM_IJiiEEENSM_IJiNS_17integral_constantIiLi1EEEEEELb0EEENS_7UnMergeISO_Lb0EEENS_11PassThroughIiEEEEENSM_IJNSC_IJLi0EEEENSC_IJLi2EEEENSC_IJLi1EEEEEEENSM_IJNSC_IJLi1ELi2EEEENSC_IJLi3ELi4EEEENSC_IJLi5EEEEEEENSC_IJLi3ELi5ELi4EEEElEEKNSL_INSM_IJNSN_INSM_IJiiiiEEENSM_IJiiiSQ_EEELb0EEEEEENSM_IJSY_EEENSM_IJNSC_IJLi1ELi2ELi3ELi4EEEEEEES1E_lEEKNSL_INSM_IJSS_NS_8RightPadIiiLb0EEES1J_NST_INSM_IJiNSP_IiLi256EEEEEELb0EEES1M_EEENSM_IJSY_S10_SZ_NSC_IJLi3EEEENSC_IJLi4EEEEEEENSM_IJS12_S1O_S1P_NSC_IJLi5ELi6EEEENSC_IJLi7ELi8EEEEEEENSC_IJLi5ELi6ELi7ELi8EEEElEELb1ELNS_25InMemoryDataOperationEnumE0ELNS_10TailNumberE1EEEvPKS5_PKS6_PDF16_PvS24_RKNSJ_7ProblemERKT_RKT0_RKT1_i.b_block_slice_copy_step,@object ; @__const._ZN2ck41GridwiseGemm_xdl_cshuffle_v3_b_preshuffleINS_13tensor_layout4gemm8RowMajorENS2_11ColumnMajorES3_NS_9f8_fnuz_tENS_7pk_i4_tEfDF16_DF16_NS_16tensor_operation12element_wise11PassThroughES9_S9_LNS7_6device18GemmSpecializationE0ELi256ELi256ELi256ELi128ELi16ELi32ELi16ELi16ELi8ELi8ENS_8SequenceIJLi8ELi32ELi1EEEENSC_IJLi1ELi0ELi2EEEESE_Li2ELi16ELi16ELb0ELi0ENSC_IJLi4ELi64ELi1EEEESE_SE_Li2ELi32ELi32ELb0ELi0ELi1ELi1ENSC_IJLi1ELi32ELi1ELi8EEEELi4ELNS_26BlockGemmPipelineSchedulerE0ELNS_24BlockGemmPipelineVersionE2ES5_S5_Lb0ELb0ELi0EE8Run_2LdsIKNS_16TensorDescriptorINS_5TupleIJNS_5EmbedINSM_IJiiEEENSM_IJiNS_17integral_constantIiLi1EEEEEELb0EEENS_7UnMergeISO_Lb0EEENS_11PassThroughIiEEEEENSM_IJNSC_IJLi0EEEENSC_IJLi2EEEENSC_IJLi1EEEEEEENSM_IJNSC_IJLi1ELi2EEEENSC_IJLi3ELi4EEEENSC_IJLi5EEEEEEENSC_IJLi3ELi5ELi4EEEElEEKNSL_INSM_IJNSN_INSM_IJiiiiEEENSM_IJiiiSQ_EEELb0EEEEEENSM_IJSY_EEENSM_IJNSC_IJLi1ELi2ELi3ELi4EEEEEEES1E_lEEKNSL_INSM_IJSS_NS_8RightPadIiiLb0EEES1J_NST_INSM_IJiNSP_IiLi256EEEEEELb0EEES1M_EEENSM_IJSY_S10_SZ_NSC_IJLi3EEEENSC_IJLi4EEEEEEENSM_IJS12_S1O_S1P_NSC_IJLi5ELi6EEEENSC_IJLi7ELi8EEEEEEENSC_IJLi5ELi6ELi7ELi8EEEElEELb1ELNS_25InMemoryDataOperationEnumE0ELNS_10TailNumberE1EEEvPKS5_PKS6_PDF16_PvS24_RKNSJ_7ProblemERKT_RKT0_RKT1_i.b_block_slice_copy_step
	.section	.rodata.cst16,"aM",@progbits,16
	.p2align	2, 0x0
__const._ZN2ck41GridwiseGemm_xdl_cshuffle_v3_b_preshuffleINS_13tensor_layout4gemm8RowMajorENS2_11ColumnMajorES3_NS_9f8_fnuz_tENS_7pk_i4_tEfDF16_DF16_NS_16tensor_operation12element_wise11PassThroughES9_S9_LNS7_6device18GemmSpecializationE0ELi256ELi256ELi256ELi128ELi16ELi32ELi16ELi16ELi8ELi8ENS_8SequenceIJLi8ELi32ELi1EEEENSC_IJLi1ELi0ELi2EEEESE_Li2ELi16ELi16ELb0ELi0ENSC_IJLi4ELi64ELi1EEEESE_SE_Li2ELi32ELi32ELb0ELi0ELi1ELi1ENSC_IJLi1ELi32ELi1ELi8EEEELi4ELNS_26BlockGemmPipelineSchedulerE0ELNS_24BlockGemmPipelineVersionE2ES5_S5_Lb0ELb0ELi0EE8Run_2LdsIKNS_16TensorDescriptorINS_5TupleIJNS_5EmbedINSM_IJiiEEENSM_IJiNS_17integral_constantIiLi1EEEEEELb0EEENS_7UnMergeISO_Lb0EEENS_11PassThroughIiEEEEENSM_IJNSC_IJLi0EEEENSC_IJLi2EEEENSC_IJLi1EEEEEEENSM_IJNSC_IJLi1ELi2EEEENSC_IJLi3ELi4EEEENSC_IJLi5EEEEEEENSC_IJLi3ELi5ELi4EEEElEEKNSL_INSM_IJNSN_INSM_IJiiiiEEENSM_IJiiiSQ_EEELb0EEEEEENSM_IJSY_EEENSM_IJNSC_IJLi1ELi2ELi3ELi4EEEEEEES1E_lEEKNSL_INSM_IJSS_NS_8RightPadIiiLb0EEES1J_NST_INSM_IJiNSP_IiLi256EEEEEELb0EEES1M_EEENSM_IJSY_S10_SZ_NSC_IJLi3EEEENSC_IJLi4EEEEEEENSM_IJS12_S1O_S1P_NSC_IJLi5ELi6EEEENSC_IJLi7ELi8EEEEEEENSC_IJLi5ELi6ELi7ELi8EEEElEELb1ELNS_25InMemoryDataOperationEnumE0ELNS_10TailNumberE1EEEvPKS5_PKS6_PDF16_PvS24_RKNSJ_7ProblemERKT_RKT0_RKT1_i.b_block_slice_copy_step:
	.long	0                               ; 0x0
	.long	0                               ; 0x0
	;; [unrolled: 1-line block ×4, first 2 shown]
	.size	__const._ZN2ck41GridwiseGemm_xdl_cshuffle_v3_b_preshuffleINS_13tensor_layout4gemm8RowMajorENS2_11ColumnMajorES3_NS_9f8_fnuz_tENS_7pk_i4_tEfDF16_DF16_NS_16tensor_operation12element_wise11PassThroughES9_S9_LNS7_6device18GemmSpecializationE0ELi256ELi256ELi256ELi128ELi16ELi32ELi16ELi16ELi8ELi8ENS_8SequenceIJLi8ELi32ELi1EEEENSC_IJLi1ELi0ELi2EEEESE_Li2ELi16ELi16ELb0ELi0ENSC_IJLi4ELi64ELi1EEEESE_SE_Li2ELi32ELi32ELb0ELi0ELi1ELi1ENSC_IJLi1ELi32ELi1ELi8EEEELi4ELNS_26BlockGemmPipelineSchedulerE0ELNS_24BlockGemmPipelineVersionE2ES5_S5_Lb0ELb0ELi0EE8Run_2LdsIKNS_16TensorDescriptorINS_5TupleIJNS_5EmbedINSM_IJiiEEENSM_IJiNS_17integral_constantIiLi1EEEEEELb0EEENS_7UnMergeISO_Lb0EEENS_11PassThroughIiEEEEENSM_IJNSC_IJLi0EEEENSC_IJLi2EEEENSC_IJLi1EEEEEEENSM_IJNSC_IJLi1ELi2EEEENSC_IJLi3ELi4EEEENSC_IJLi5EEEEEEENSC_IJLi3ELi5ELi4EEEElEEKNSL_INSM_IJNSN_INSM_IJiiiiEEENSM_IJiiiSQ_EEELb0EEEEEENSM_IJSY_EEENSM_IJNSC_IJLi1ELi2ELi3ELi4EEEEEEES1E_lEEKNSL_INSM_IJSS_NS_8RightPadIiiLb0EEES1J_NST_INSM_IJiNSP_IiLi256EEEEEELb0EEES1M_EEENSM_IJSY_S10_SZ_NSC_IJLi3EEEENSC_IJLi4EEEEEEENSM_IJS12_S1O_S1P_NSC_IJLi5ELi6EEEENSC_IJLi7ELi8EEEEEEENSC_IJLi5ELi6ELi7ELi8EEEElEELb1ELNS_25InMemoryDataOperationEnumE0ELNS_10TailNumberE1EEEvPKS5_PKS6_PDF16_PvS24_RKNSJ_7ProblemERKT_RKT0_RKT1_i.b_block_slice_copy_step, 16

	.type	__hip_cuid_de420108671c4ba2,@object ; @__hip_cuid_de420108671c4ba2
	.section	.bss,"aw",@nobits
	.globl	__hip_cuid_de420108671c4ba2
__hip_cuid_de420108671c4ba2:
	.byte	0                               ; 0x0
	.size	__hip_cuid_de420108671c4ba2, 1

	.ident	"AMD clang version 22.0.0git (https://github.com/RadeonOpenCompute/llvm-project roc-7.2.4 26084 f58b06dce1f9c15707c5f808fd002e18c2accf7e)"
	.section	".note.GNU-stack","",@progbits
	.addrsig
	.addrsig_sym __hip_cuid_de420108671c4ba2
	.amdgpu_metadata
---
amdhsa.kernels:
  - .agpr_count:     0
    .args:           []
    .group_segment_fixed_size: 0
    .kernarg_segment_align: 4
    .kernarg_segment_size: 0
    .language:       OpenCL C
    .language_version:
      - 2
      - 0
    .max_flat_workgroup_size: 1024
    .name:           _ZN2ckL12flush_icacheEv
    .private_segment_fixed_size: 0
    .sgpr_count:     6
    .sgpr_spill_count: 0
    .symbol:         _ZN2ckL12flush_icacheEv.kd
    .uniform_work_group_size: 1
    .uses_dynamic_stack: false
    .vgpr_count:     0
    .vgpr_spill_count: 0
    .wavefront_size: 64
  - .agpr_count:     50
    .args:
      - .offset:         0
        .size:           112
        .value_kind:     by_value
    .group_segment_fixed_size: 65536
    .kernarg_segment_align: 8
    .kernarg_segment_size: 112
    .language:       OpenCL C
    .language_version:
      - 2
      - 0
    .max_flat_workgroup_size: 256
    .name:           _ZN2ck45kernel_gemm_xdl_cshuffle_v3_b_preshuffle_2ldsINS_41GridwiseGemm_xdl_cshuffle_v3_b_preshuffleINS_13tensor_layout4gemm8RowMajorENS3_11ColumnMajorES4_NS_9f8_fnuz_tENS_7pk_i4_tEfDF16_DF16_NS_16tensor_operation12element_wise11PassThroughESA_SA_LNS8_6device18GemmSpecializationE0ELi256ELi256ELi256ELi128ELi16ELi32ELi16ELi16ELi8ELi8ENS_8SequenceIJLi8ELi32ELi1EEEENSD_IJLi1ELi0ELi2EEEESF_Li2ELi16ELi16ELb0ELi0ENSD_IJLi4ELi64ELi1EEEESF_SF_Li2ELi32ELi32ELb0ELi0ELi1ELi1ENSD_IJLi1ELi32ELi1ELi8EEEELi4ELNS_26BlockGemmPipelineSchedulerE0ELNS_24BlockGemmPipelineVersionE2ES6_S6_Lb0ELb0ELi0EEELb1ELNS_25InMemoryDataOperationEnumE1ELi1ELNS_10TailNumberE0EEEvNT_8ArgumentE
    .private_segment_fixed_size: 3312
    .sgpr_count:     46
    .sgpr_spill_count: 0
    .symbol:         _ZN2ck45kernel_gemm_xdl_cshuffle_v3_b_preshuffle_2ldsINS_41GridwiseGemm_xdl_cshuffle_v3_b_preshuffleINS_13tensor_layout4gemm8RowMajorENS3_11ColumnMajorES4_NS_9f8_fnuz_tENS_7pk_i4_tEfDF16_DF16_NS_16tensor_operation12element_wise11PassThroughESA_SA_LNS8_6device18GemmSpecializationE0ELi256ELi256ELi256ELi128ELi16ELi32ELi16ELi16ELi8ELi8ENS_8SequenceIJLi8ELi32ELi1EEEENSD_IJLi1ELi0ELi2EEEESF_Li2ELi16ELi16ELb0ELi0ENSD_IJLi4ELi64ELi1EEEESF_SF_Li2ELi32ELi32ELb0ELi0ELi1ELi1ENSD_IJLi1ELi32ELi1ELi8EEEELi4ELNS_26BlockGemmPipelineSchedulerE0ELNS_24BlockGemmPipelineVersionE2ES6_S6_Lb0ELb0ELi0EEELb1ELNS_25InMemoryDataOperationEnumE1ELi1ELNS_10TailNumberE0EEEvNT_8ArgumentE.kd
    .uniform_work_group_size: 1
    .uses_dynamic_stack: false
    .vgpr_count:     306
    .vgpr_spill_count: 0
    .wavefront_size: 64
  - .agpr_count:     56
    .args:
      - .offset:         0
        .size:           112
        .value_kind:     by_value
    .group_segment_fixed_size: 65536
    .kernarg_segment_align: 8
    .kernarg_segment_size: 112
    .language:       OpenCL C
    .language_version:
      - 2
      - 0
    .max_flat_workgroup_size: 256
    .name:           _ZN2ck45kernel_gemm_xdl_cshuffle_v3_b_preshuffle_2ldsINS_41GridwiseGemm_xdl_cshuffle_v3_b_preshuffleINS_13tensor_layout4gemm8RowMajorENS3_11ColumnMajorES4_NS_9f8_fnuz_tENS_7pk_i4_tEfDF16_DF16_NS_16tensor_operation12element_wise11PassThroughESA_SA_LNS8_6device18GemmSpecializationE0ELi256ELi256ELi256ELi128ELi16ELi32ELi16ELi16ELi8ELi8ENS_8SequenceIJLi8ELi32ELi1EEEENSD_IJLi1ELi0ELi2EEEESF_Li2ELi16ELi16ELb0ELi0ENSD_IJLi4ELi64ELi1EEEESF_SF_Li2ELi32ELi32ELb0ELi0ELi1ELi1ENSD_IJLi1ELi32ELi1ELi8EEEELi4ELNS_26BlockGemmPipelineSchedulerE0ELNS_24BlockGemmPipelineVersionE2ES6_S6_Lb0ELb0ELi0EEELb1ELNS_25InMemoryDataOperationEnumE1ELi1ELNS_10TailNumberE1EEEvNT_8ArgumentE
    .private_segment_fixed_size: 3312
    .sgpr_count:     46
    .sgpr_spill_count: 0
    .symbol:         _ZN2ck45kernel_gemm_xdl_cshuffle_v3_b_preshuffle_2ldsINS_41GridwiseGemm_xdl_cshuffle_v3_b_preshuffleINS_13tensor_layout4gemm8RowMajorENS3_11ColumnMajorES4_NS_9f8_fnuz_tENS_7pk_i4_tEfDF16_DF16_NS_16tensor_operation12element_wise11PassThroughESA_SA_LNS8_6device18GemmSpecializationE0ELi256ELi256ELi256ELi128ELi16ELi32ELi16ELi16ELi8ELi8ENS_8SequenceIJLi8ELi32ELi1EEEENSD_IJLi1ELi0ELi2EEEESF_Li2ELi16ELi16ELb0ELi0ENSD_IJLi4ELi64ELi1EEEESF_SF_Li2ELi32ELi32ELb0ELi0ELi1ELi1ENSD_IJLi1ELi32ELi1ELi8EEEELi4ELNS_26BlockGemmPipelineSchedulerE0ELNS_24BlockGemmPipelineVersionE2ES6_S6_Lb0ELb0ELi0EEELb1ELNS_25InMemoryDataOperationEnumE1ELi1ELNS_10TailNumberE1EEEvNT_8ArgumentE.kd
    .uniform_work_group_size: 1
    .uses_dynamic_stack: false
    .vgpr_count:     312
    .vgpr_spill_count: 0
    .wavefront_size: 64
  - .agpr_count:     50
    .args:
      - .offset:         0
        .size:           112
        .value_kind:     by_value
    .group_segment_fixed_size: 65536
    .kernarg_segment_align: 8
    .kernarg_segment_size: 112
    .language:       OpenCL C
    .language_version:
      - 2
      - 0
    .max_flat_workgroup_size: 256
    .name:           _ZN2ck45kernel_gemm_xdl_cshuffle_v3_b_preshuffle_2ldsINS_41GridwiseGemm_xdl_cshuffle_v3_b_preshuffleINS_13tensor_layout4gemm8RowMajorENS3_11ColumnMajorES4_NS_9f8_fnuz_tENS_7pk_i4_tEfDF16_DF16_NS_16tensor_operation12element_wise11PassThroughESA_SA_LNS8_6device18GemmSpecializationE0ELi256ELi256ELi256ELi128ELi16ELi32ELi16ELi16ELi8ELi8ENS_8SequenceIJLi8ELi32ELi1EEEENSD_IJLi1ELi0ELi2EEEESF_Li2ELi16ELi16ELb0ELi0ENSD_IJLi4ELi64ELi1EEEESF_SF_Li2ELi32ELi32ELb0ELi0ELi1ELi1ENSD_IJLi1ELi32ELi1ELi8EEEELi4ELNS_26BlockGemmPipelineSchedulerE0ELNS_24BlockGemmPipelineVersionE2ES6_S6_Lb0ELb0ELi0EEELb1ELNS_25InMemoryDataOperationEnumE0ELi1ELNS_10TailNumberE0EEEvNT_8ArgumentE
    .private_segment_fixed_size: 3312
    .sgpr_count:     46
    .sgpr_spill_count: 0
    .symbol:         _ZN2ck45kernel_gemm_xdl_cshuffle_v3_b_preshuffle_2ldsINS_41GridwiseGemm_xdl_cshuffle_v3_b_preshuffleINS_13tensor_layout4gemm8RowMajorENS3_11ColumnMajorES4_NS_9f8_fnuz_tENS_7pk_i4_tEfDF16_DF16_NS_16tensor_operation12element_wise11PassThroughESA_SA_LNS8_6device18GemmSpecializationE0ELi256ELi256ELi256ELi128ELi16ELi32ELi16ELi16ELi8ELi8ENS_8SequenceIJLi8ELi32ELi1EEEENSD_IJLi1ELi0ELi2EEEESF_Li2ELi16ELi16ELb0ELi0ENSD_IJLi4ELi64ELi1EEEESF_SF_Li2ELi32ELi32ELb0ELi0ELi1ELi1ENSD_IJLi1ELi32ELi1ELi8EEEELi4ELNS_26BlockGemmPipelineSchedulerE0ELNS_24BlockGemmPipelineVersionE2ES6_S6_Lb0ELb0ELi0EEELb1ELNS_25InMemoryDataOperationEnumE0ELi1ELNS_10TailNumberE0EEEvNT_8ArgumentE.kd
    .uniform_work_group_size: 1
    .uses_dynamic_stack: false
    .vgpr_count:     306
    .vgpr_spill_count: 0
    .wavefront_size: 64
  - .agpr_count:     56
    .args:
      - .offset:         0
        .size:           112
        .value_kind:     by_value
    .group_segment_fixed_size: 65536
    .kernarg_segment_align: 8
    .kernarg_segment_size: 112
    .language:       OpenCL C
    .language_version:
      - 2
      - 0
    .max_flat_workgroup_size: 256
    .name:           _ZN2ck45kernel_gemm_xdl_cshuffle_v3_b_preshuffle_2ldsINS_41GridwiseGemm_xdl_cshuffle_v3_b_preshuffleINS_13tensor_layout4gemm8RowMajorENS3_11ColumnMajorES4_NS_9f8_fnuz_tENS_7pk_i4_tEfDF16_DF16_NS_16tensor_operation12element_wise11PassThroughESA_SA_LNS8_6device18GemmSpecializationE0ELi256ELi256ELi256ELi128ELi16ELi32ELi16ELi16ELi8ELi8ENS_8SequenceIJLi8ELi32ELi1EEEENSD_IJLi1ELi0ELi2EEEESF_Li2ELi16ELi16ELb0ELi0ENSD_IJLi4ELi64ELi1EEEESF_SF_Li2ELi32ELi32ELb0ELi0ELi1ELi1ENSD_IJLi1ELi32ELi1ELi8EEEELi4ELNS_26BlockGemmPipelineSchedulerE0ELNS_24BlockGemmPipelineVersionE2ES6_S6_Lb0ELb0ELi0EEELb1ELNS_25InMemoryDataOperationEnumE0ELi1ELNS_10TailNumberE1EEEvNT_8ArgumentE
    .private_segment_fixed_size: 3312
    .sgpr_count:     46
    .sgpr_spill_count: 0
    .symbol:         _ZN2ck45kernel_gemm_xdl_cshuffle_v3_b_preshuffle_2ldsINS_41GridwiseGemm_xdl_cshuffle_v3_b_preshuffleINS_13tensor_layout4gemm8RowMajorENS3_11ColumnMajorES4_NS_9f8_fnuz_tENS_7pk_i4_tEfDF16_DF16_NS_16tensor_operation12element_wise11PassThroughESA_SA_LNS8_6device18GemmSpecializationE0ELi256ELi256ELi256ELi128ELi16ELi32ELi16ELi16ELi8ELi8ENS_8SequenceIJLi8ELi32ELi1EEEENSD_IJLi1ELi0ELi2EEEESF_Li2ELi16ELi16ELb0ELi0ENSD_IJLi4ELi64ELi1EEEESF_SF_Li2ELi32ELi32ELb0ELi0ELi1ELi1ENSD_IJLi1ELi32ELi1ELi8EEEELi4ELNS_26BlockGemmPipelineSchedulerE0ELNS_24BlockGemmPipelineVersionE2ES6_S6_Lb0ELb0ELi0EEELb1ELNS_25InMemoryDataOperationEnumE0ELi1ELNS_10TailNumberE1EEEvNT_8ArgumentE.kd
    .uniform_work_group_size: 1
    .uses_dynamic_stack: false
    .vgpr_count:     312
    .vgpr_spill_count: 0
    .wavefront_size: 64
  - .agpr_count:     0
    .args:
      - .offset:         0
        .size:           112
        .value_kind:     by_value
    .group_segment_fixed_size: 0
    .kernarg_segment_align: 8
    .kernarg_segment_size: 112
    .language:       OpenCL C
    .language_version:
      - 2
      - 0
    .max_flat_workgroup_size: 256
    .name:           _ZN2ck45kernel_gemm_xdl_cshuffle_v3_b_preshuffle_2ldsINS_41GridwiseGemm_xdl_cshuffle_v3_b_preshuffleINS_13tensor_layout4gemm8RowMajorENS3_11ColumnMajorES4_NS_9f8_fnuz_tENS_7pk_i4_tEfDF16_DF16_NS_16tensor_operation12element_wise11PassThroughESA_SA_LNS8_6device18GemmSpecializationE0ELi256ELi256ELi256ELi128ELi16ELi32ELi16ELi16ELi8ELi4ENS_8SequenceIJLi8ELi32ELi1EEEENSD_IJLi1ELi0ELi2EEEESF_Li2ELi16ELi16ELb0ELi0ENSD_IJLi4ELi64ELi1EEEESF_SF_Li2ELi32ELi32ELb0ELi0ELi1ELi1ENSD_IJLi1ELi32ELi1ELi8EEEELi4ELNS_26BlockGemmPipelineSchedulerE0ELNS_24BlockGemmPipelineVersionE2ES6_S6_Lb0ELb0ELi0EEELb1ELNS_25InMemoryDataOperationEnumE1ELi1ELNS_10TailNumberE0EEEvNT_8ArgumentE
    .private_segment_fixed_size: 0
    .sgpr_count:     6
    .sgpr_spill_count: 0
    .symbol:         _ZN2ck45kernel_gemm_xdl_cshuffle_v3_b_preshuffle_2ldsINS_41GridwiseGemm_xdl_cshuffle_v3_b_preshuffleINS_13tensor_layout4gemm8RowMajorENS3_11ColumnMajorES4_NS_9f8_fnuz_tENS_7pk_i4_tEfDF16_DF16_NS_16tensor_operation12element_wise11PassThroughESA_SA_LNS8_6device18GemmSpecializationE0ELi256ELi256ELi256ELi128ELi16ELi32ELi16ELi16ELi8ELi4ENS_8SequenceIJLi8ELi32ELi1EEEENSD_IJLi1ELi0ELi2EEEESF_Li2ELi16ELi16ELb0ELi0ENSD_IJLi4ELi64ELi1EEEESF_SF_Li2ELi32ELi32ELb0ELi0ELi1ELi1ENSD_IJLi1ELi32ELi1ELi8EEEELi4ELNS_26BlockGemmPipelineSchedulerE0ELNS_24BlockGemmPipelineVersionE2ES6_S6_Lb0ELb0ELi0EEELb1ELNS_25InMemoryDataOperationEnumE1ELi1ELNS_10TailNumberE0EEEvNT_8ArgumentE.kd
    .uniform_work_group_size: 1
    .uses_dynamic_stack: false
    .vgpr_count:     0
    .vgpr_spill_count: 0
    .wavefront_size: 64
  - .agpr_count:     0
    .args:
      - .offset:         0
        .size:           112
        .value_kind:     by_value
    .group_segment_fixed_size: 0
    .kernarg_segment_align: 8
    .kernarg_segment_size: 112
    .language:       OpenCL C
    .language_version:
      - 2
      - 0
    .max_flat_workgroup_size: 256
    .name:           _ZN2ck45kernel_gemm_xdl_cshuffle_v3_b_preshuffle_2ldsINS_41GridwiseGemm_xdl_cshuffle_v3_b_preshuffleINS_13tensor_layout4gemm8RowMajorENS3_11ColumnMajorES4_NS_9f8_fnuz_tENS_7pk_i4_tEfDF16_DF16_NS_16tensor_operation12element_wise11PassThroughESA_SA_LNS8_6device18GemmSpecializationE0ELi256ELi256ELi256ELi128ELi16ELi32ELi16ELi16ELi8ELi4ENS_8SequenceIJLi8ELi32ELi1EEEENSD_IJLi1ELi0ELi2EEEESF_Li2ELi16ELi16ELb0ELi0ENSD_IJLi4ELi64ELi1EEEESF_SF_Li2ELi32ELi32ELb0ELi0ELi1ELi1ENSD_IJLi1ELi32ELi1ELi8EEEELi4ELNS_26BlockGemmPipelineSchedulerE0ELNS_24BlockGemmPipelineVersionE2ES6_S6_Lb0ELb0ELi0EEELb1ELNS_25InMemoryDataOperationEnumE1ELi1ELNS_10TailNumberE1EEEvNT_8ArgumentE
    .private_segment_fixed_size: 0
    .sgpr_count:     6
    .sgpr_spill_count: 0
    .symbol:         _ZN2ck45kernel_gemm_xdl_cshuffle_v3_b_preshuffle_2ldsINS_41GridwiseGemm_xdl_cshuffle_v3_b_preshuffleINS_13tensor_layout4gemm8RowMajorENS3_11ColumnMajorES4_NS_9f8_fnuz_tENS_7pk_i4_tEfDF16_DF16_NS_16tensor_operation12element_wise11PassThroughESA_SA_LNS8_6device18GemmSpecializationE0ELi256ELi256ELi256ELi128ELi16ELi32ELi16ELi16ELi8ELi4ENS_8SequenceIJLi8ELi32ELi1EEEENSD_IJLi1ELi0ELi2EEEESF_Li2ELi16ELi16ELb0ELi0ENSD_IJLi4ELi64ELi1EEEESF_SF_Li2ELi32ELi32ELb0ELi0ELi1ELi1ENSD_IJLi1ELi32ELi1ELi8EEEELi4ELNS_26BlockGemmPipelineSchedulerE0ELNS_24BlockGemmPipelineVersionE2ES6_S6_Lb0ELb0ELi0EEELb1ELNS_25InMemoryDataOperationEnumE1ELi1ELNS_10TailNumberE1EEEvNT_8ArgumentE.kd
    .uniform_work_group_size: 1
    .uses_dynamic_stack: false
    .vgpr_count:     0
    .vgpr_spill_count: 0
    .wavefront_size: 64
  - .agpr_count:     0
    .args:
      - .offset:         0
        .size:           112
        .value_kind:     by_value
    .group_segment_fixed_size: 0
    .kernarg_segment_align: 8
    .kernarg_segment_size: 112
    .language:       OpenCL C
    .language_version:
      - 2
      - 0
    .max_flat_workgroup_size: 256
    .name:           _ZN2ck45kernel_gemm_xdl_cshuffle_v3_b_preshuffle_2ldsINS_41GridwiseGemm_xdl_cshuffle_v3_b_preshuffleINS_13tensor_layout4gemm8RowMajorENS3_11ColumnMajorES4_NS_9f8_fnuz_tENS_7pk_i4_tEfDF16_DF16_NS_16tensor_operation12element_wise11PassThroughESA_SA_LNS8_6device18GemmSpecializationE0ELi256ELi256ELi256ELi128ELi16ELi32ELi16ELi16ELi8ELi4ENS_8SequenceIJLi8ELi32ELi1EEEENSD_IJLi1ELi0ELi2EEEESF_Li2ELi16ELi16ELb0ELi0ENSD_IJLi4ELi64ELi1EEEESF_SF_Li2ELi32ELi32ELb0ELi0ELi1ELi1ENSD_IJLi1ELi32ELi1ELi8EEEELi4ELNS_26BlockGemmPipelineSchedulerE0ELNS_24BlockGemmPipelineVersionE2ES6_S6_Lb0ELb0ELi0EEELb1ELNS_25InMemoryDataOperationEnumE0ELi1ELNS_10TailNumberE0EEEvNT_8ArgumentE
    .private_segment_fixed_size: 0
    .sgpr_count:     6
    .sgpr_spill_count: 0
    .symbol:         _ZN2ck45kernel_gemm_xdl_cshuffle_v3_b_preshuffle_2ldsINS_41GridwiseGemm_xdl_cshuffle_v3_b_preshuffleINS_13tensor_layout4gemm8RowMajorENS3_11ColumnMajorES4_NS_9f8_fnuz_tENS_7pk_i4_tEfDF16_DF16_NS_16tensor_operation12element_wise11PassThroughESA_SA_LNS8_6device18GemmSpecializationE0ELi256ELi256ELi256ELi128ELi16ELi32ELi16ELi16ELi8ELi4ENS_8SequenceIJLi8ELi32ELi1EEEENSD_IJLi1ELi0ELi2EEEESF_Li2ELi16ELi16ELb0ELi0ENSD_IJLi4ELi64ELi1EEEESF_SF_Li2ELi32ELi32ELb0ELi0ELi1ELi1ENSD_IJLi1ELi32ELi1ELi8EEEELi4ELNS_26BlockGemmPipelineSchedulerE0ELNS_24BlockGemmPipelineVersionE2ES6_S6_Lb0ELb0ELi0EEELb1ELNS_25InMemoryDataOperationEnumE0ELi1ELNS_10TailNumberE0EEEvNT_8ArgumentE.kd
    .uniform_work_group_size: 1
    .uses_dynamic_stack: false
    .vgpr_count:     0
    .vgpr_spill_count: 0
    .wavefront_size: 64
  - .agpr_count:     0
    .args:
      - .offset:         0
        .size:           112
        .value_kind:     by_value
    .group_segment_fixed_size: 0
    .kernarg_segment_align: 8
    .kernarg_segment_size: 112
    .language:       OpenCL C
    .language_version:
      - 2
      - 0
    .max_flat_workgroup_size: 256
    .name:           _ZN2ck45kernel_gemm_xdl_cshuffle_v3_b_preshuffle_2ldsINS_41GridwiseGemm_xdl_cshuffle_v3_b_preshuffleINS_13tensor_layout4gemm8RowMajorENS3_11ColumnMajorES4_NS_9f8_fnuz_tENS_7pk_i4_tEfDF16_DF16_NS_16tensor_operation12element_wise11PassThroughESA_SA_LNS8_6device18GemmSpecializationE0ELi256ELi256ELi256ELi128ELi16ELi32ELi16ELi16ELi8ELi4ENS_8SequenceIJLi8ELi32ELi1EEEENSD_IJLi1ELi0ELi2EEEESF_Li2ELi16ELi16ELb0ELi0ENSD_IJLi4ELi64ELi1EEEESF_SF_Li2ELi32ELi32ELb0ELi0ELi1ELi1ENSD_IJLi1ELi32ELi1ELi8EEEELi4ELNS_26BlockGemmPipelineSchedulerE0ELNS_24BlockGemmPipelineVersionE2ES6_S6_Lb0ELb0ELi0EEELb1ELNS_25InMemoryDataOperationEnumE0ELi1ELNS_10TailNumberE1EEEvNT_8ArgumentE
    .private_segment_fixed_size: 0
    .sgpr_count:     6
    .sgpr_spill_count: 0
    .symbol:         _ZN2ck45kernel_gemm_xdl_cshuffle_v3_b_preshuffle_2ldsINS_41GridwiseGemm_xdl_cshuffle_v3_b_preshuffleINS_13tensor_layout4gemm8RowMajorENS3_11ColumnMajorES4_NS_9f8_fnuz_tENS_7pk_i4_tEfDF16_DF16_NS_16tensor_operation12element_wise11PassThroughESA_SA_LNS8_6device18GemmSpecializationE0ELi256ELi256ELi256ELi128ELi16ELi32ELi16ELi16ELi8ELi4ENS_8SequenceIJLi8ELi32ELi1EEEENSD_IJLi1ELi0ELi2EEEESF_Li2ELi16ELi16ELb0ELi0ENSD_IJLi4ELi64ELi1EEEESF_SF_Li2ELi32ELi32ELb0ELi0ELi1ELi1ENSD_IJLi1ELi32ELi1ELi8EEEELi4ELNS_26BlockGemmPipelineSchedulerE0ELNS_24BlockGemmPipelineVersionE2ES6_S6_Lb0ELb0ELi0EEELb1ELNS_25InMemoryDataOperationEnumE0ELi1ELNS_10TailNumberE1EEEvNT_8ArgumentE.kd
    .uniform_work_group_size: 1
    .uses_dynamic_stack: false
    .vgpr_count:     0
    .vgpr_spill_count: 0
    .wavefront_size: 64
amdhsa.target:   amdgcn-amd-amdhsa--gfx950
amdhsa.version:
  - 1
  - 2
...

	.end_amdgpu_metadata
